;; amdgpu-corpus repo=ROCm/rocFFT kind=compiled arch=gfx906 opt=O3
	.text
	.amdgcn_target "amdgcn-amd-amdhsa--gfx906"
	.amdhsa_code_object_version 6
	.protected	fft_rtc_back_len1625_factors_13_5_5_5_wgs_130_tpt_65_halfLds_sp_op_CI_CI_sbrr_dirReg ; -- Begin function fft_rtc_back_len1625_factors_13_5_5_5_wgs_130_tpt_65_halfLds_sp_op_CI_CI_sbrr_dirReg
	.globl	fft_rtc_back_len1625_factors_13_5_5_5_wgs_130_tpt_65_halfLds_sp_op_CI_CI_sbrr_dirReg
	.p2align	8
	.type	fft_rtc_back_len1625_factors_13_5_5_5_wgs_130_tpt_65_halfLds_sp_op_CI_CI_sbrr_dirReg,@function
fft_rtc_back_len1625_factors_13_5_5_5_wgs_130_tpt_65_halfLds_sp_op_CI_CI_sbrr_dirReg: ; @fft_rtc_back_len1625_factors_13_5_5_5_wgs_130_tpt_65_halfLds_sp_op_CI_CI_sbrr_dirReg
; %bb.0:
	s_load_dwordx4 s[16:19], s[4:5], 0x18
	s_load_dwordx4 s[12:15], s[4:5], 0x0
	;; [unrolled: 1-line block ×3, first 2 shown]
	v_mul_u32_u24_e32 v1, 0x3f1, v0
	v_lshrrev_b32_e32 v60, 16, v1
	s_waitcnt lgkmcnt(0)
	s_load_dwordx2 s[20:21], s[16:17], 0x0
	s_load_dwordx2 s[2:3], s[18:19], 0x0
	v_cmp_lt_u64_e64 s[0:1], s[14:15], 2
	v_mov_b32_e32 v5, 0
	v_mov_b32_e32 v57, 0
	v_lshl_add_u32 v7, s6, 1, v60
	v_mov_b32_e32 v8, v5
	s_and_b64 vcc, exec, s[0:1]
	v_mov_b32_e32 v58, 0
	s_cbranch_vccnz .LBB0_8
; %bb.1:
	s_load_dwordx2 s[0:1], s[4:5], 0x10
	s_add_u32 s6, s18, 8
	s_addc_u32 s7, s19, 0
	s_add_u32 s22, s16, 8
	s_addc_u32 s23, s17, 0
	v_mov_b32_e32 v57, 0
	s_waitcnt lgkmcnt(0)
	s_add_u32 s24, s0, 8
	v_mov_b32_e32 v58, 0
	v_mov_b32_e32 v1, v57
	s_addc_u32 s25, s1, 0
	s_mov_b64 s[26:27], 1
	v_mov_b32_e32 v2, v58
.LBB0_2:                                ; =>This Inner Loop Header: Depth=1
	s_load_dwordx2 s[28:29], s[24:25], 0x0
                                        ; implicit-def: $vgpr3_vgpr4
	s_waitcnt lgkmcnt(0)
	v_or_b32_e32 v6, s29, v8
	v_cmp_ne_u64_e32 vcc, 0, v[5:6]
	s_and_saveexec_b64 s[0:1], vcc
	s_xor_b64 s[30:31], exec, s[0:1]
	s_cbranch_execz .LBB0_4
; %bb.3:                                ;   in Loop: Header=BB0_2 Depth=1
	v_cvt_f32_u32_e32 v3, s28
	v_cvt_f32_u32_e32 v4, s29
	s_sub_u32 s0, 0, s28
	s_subb_u32 s1, 0, s29
	v_mac_f32_e32 v3, 0x4f800000, v4
	v_rcp_f32_e32 v3, v3
	v_mul_f32_e32 v3, 0x5f7ffffc, v3
	v_mul_f32_e32 v4, 0x2f800000, v3
	v_trunc_f32_e32 v4, v4
	v_mac_f32_e32 v3, 0xcf800000, v4
	v_cvt_u32_f32_e32 v4, v4
	v_cvt_u32_f32_e32 v3, v3
	v_mul_lo_u32 v6, s0, v4
	v_mul_hi_u32 v9, s0, v3
	v_mul_lo_u32 v11, s1, v3
	v_mul_lo_u32 v10, s0, v3
	v_add_u32_e32 v6, v9, v6
	v_add_u32_e32 v6, v6, v11
	v_mul_hi_u32 v9, v3, v10
	v_mul_lo_u32 v11, v3, v6
	v_mul_hi_u32 v13, v3, v6
	v_mul_hi_u32 v12, v4, v10
	v_mul_lo_u32 v10, v4, v10
	v_mul_hi_u32 v14, v4, v6
	v_add_co_u32_e32 v9, vcc, v9, v11
	v_addc_co_u32_e32 v11, vcc, 0, v13, vcc
	v_mul_lo_u32 v6, v4, v6
	v_add_co_u32_e32 v9, vcc, v9, v10
	v_addc_co_u32_e32 v9, vcc, v11, v12, vcc
	v_addc_co_u32_e32 v10, vcc, 0, v14, vcc
	v_add_co_u32_e32 v6, vcc, v9, v6
	v_addc_co_u32_e32 v9, vcc, 0, v10, vcc
	v_add_co_u32_e32 v3, vcc, v3, v6
	v_addc_co_u32_e32 v4, vcc, v4, v9, vcc
	v_mul_lo_u32 v6, s0, v4
	v_mul_hi_u32 v9, s0, v3
	v_mul_lo_u32 v10, s1, v3
	v_mul_lo_u32 v11, s0, v3
	v_add_u32_e32 v6, v9, v6
	v_add_u32_e32 v6, v6, v10
	v_mul_lo_u32 v12, v3, v6
	v_mul_hi_u32 v13, v3, v11
	v_mul_hi_u32 v14, v3, v6
	;; [unrolled: 1-line block ×3, first 2 shown]
	v_mul_lo_u32 v11, v4, v11
	v_mul_hi_u32 v9, v4, v6
	v_add_co_u32_e32 v12, vcc, v13, v12
	v_addc_co_u32_e32 v13, vcc, 0, v14, vcc
	v_mul_lo_u32 v6, v4, v6
	v_add_co_u32_e32 v11, vcc, v12, v11
	v_addc_co_u32_e32 v10, vcc, v13, v10, vcc
	v_addc_co_u32_e32 v9, vcc, 0, v9, vcc
	v_add_co_u32_e32 v6, vcc, v10, v6
	v_addc_co_u32_e32 v9, vcc, 0, v9, vcc
	v_add_co_u32_e32 v6, vcc, v3, v6
	v_addc_co_u32_e32 v9, vcc, v4, v9, vcc
	v_mad_u64_u32 v[3:4], s[0:1], v7, v9, 0
	v_mul_hi_u32 v10, v7, v6
	v_add_co_u32_e32 v11, vcc, v10, v3
	v_addc_co_u32_e32 v12, vcc, 0, v4, vcc
	v_mad_u64_u32 v[3:4], s[0:1], v8, v6, 0
	v_mad_u64_u32 v[9:10], s[0:1], v8, v9, 0
	v_add_co_u32_e32 v3, vcc, v11, v3
	v_addc_co_u32_e32 v3, vcc, v12, v4, vcc
	v_addc_co_u32_e32 v4, vcc, 0, v10, vcc
	v_add_co_u32_e32 v6, vcc, v3, v9
	v_addc_co_u32_e32 v9, vcc, 0, v4, vcc
	v_mul_lo_u32 v10, s29, v6
	v_mul_lo_u32 v11, s28, v9
	v_mad_u64_u32 v[3:4], s[0:1], s28, v6, 0
	v_add3_u32 v4, v4, v11, v10
	v_sub_u32_e32 v10, v8, v4
	v_mov_b32_e32 v11, s29
	v_sub_co_u32_e32 v3, vcc, v7, v3
	v_subb_co_u32_e64 v10, s[0:1], v10, v11, vcc
	v_subrev_co_u32_e64 v11, s[0:1], s28, v3
	v_subbrev_co_u32_e64 v10, s[0:1], 0, v10, s[0:1]
	v_cmp_le_u32_e64 s[0:1], s29, v10
	v_cndmask_b32_e64 v12, 0, -1, s[0:1]
	v_cmp_le_u32_e64 s[0:1], s28, v11
	v_cndmask_b32_e64 v11, 0, -1, s[0:1]
	v_cmp_eq_u32_e64 s[0:1], s29, v10
	v_cndmask_b32_e64 v10, v12, v11, s[0:1]
	v_add_co_u32_e64 v11, s[0:1], 2, v6
	v_addc_co_u32_e64 v12, s[0:1], 0, v9, s[0:1]
	v_add_co_u32_e64 v13, s[0:1], 1, v6
	v_addc_co_u32_e64 v14, s[0:1], 0, v9, s[0:1]
	v_subb_co_u32_e32 v4, vcc, v8, v4, vcc
	v_cmp_ne_u32_e64 s[0:1], 0, v10
	v_cmp_le_u32_e32 vcc, s29, v4
	v_cndmask_b32_e64 v10, v14, v12, s[0:1]
	v_cndmask_b32_e64 v12, 0, -1, vcc
	v_cmp_le_u32_e32 vcc, s28, v3
	v_cndmask_b32_e64 v3, 0, -1, vcc
	v_cmp_eq_u32_e32 vcc, s29, v4
	v_cndmask_b32_e32 v3, v12, v3, vcc
	v_cmp_ne_u32_e32 vcc, 0, v3
	v_cndmask_b32_e64 v3, v13, v11, s[0:1]
	v_cndmask_b32_e32 v4, v9, v10, vcc
	v_cndmask_b32_e32 v3, v6, v3, vcc
.LBB0_4:                                ;   in Loop: Header=BB0_2 Depth=1
	s_andn2_saveexec_b64 s[0:1], s[30:31]
	s_cbranch_execz .LBB0_6
; %bb.5:                                ;   in Loop: Header=BB0_2 Depth=1
	v_cvt_f32_u32_e32 v3, s28
	s_sub_i32 s30, 0, s28
	v_rcp_iflag_f32_e32 v3, v3
	v_mul_f32_e32 v3, 0x4f7ffffe, v3
	v_cvt_u32_f32_e32 v3, v3
	v_mul_lo_u32 v4, s30, v3
	v_mul_hi_u32 v4, v3, v4
	v_add_u32_e32 v3, v3, v4
	v_mul_hi_u32 v3, v7, v3
	v_mul_lo_u32 v4, v3, s28
	v_add_u32_e32 v6, 1, v3
	v_sub_u32_e32 v4, v7, v4
	v_subrev_u32_e32 v9, s28, v4
	v_cmp_le_u32_e32 vcc, s28, v4
	v_cndmask_b32_e32 v4, v4, v9, vcc
	v_cndmask_b32_e32 v3, v3, v6, vcc
	v_add_u32_e32 v6, 1, v3
	v_cmp_le_u32_e32 vcc, s28, v4
	v_cndmask_b32_e32 v3, v3, v6, vcc
	v_mov_b32_e32 v4, v5
.LBB0_6:                                ;   in Loop: Header=BB0_2 Depth=1
	s_or_b64 exec, exec, s[0:1]
	v_mul_lo_u32 v6, v4, s28
	v_mul_lo_u32 v11, v3, s29
	v_mad_u64_u32 v[9:10], s[0:1], v3, s28, 0
	s_load_dwordx2 s[0:1], s[22:23], 0x0
	s_load_dwordx2 s[28:29], s[6:7], 0x0
	v_add3_u32 v6, v10, v11, v6
	v_sub_co_u32_e32 v7, vcc, v7, v9
	v_subb_co_u32_e32 v6, vcc, v8, v6, vcc
	s_waitcnt lgkmcnt(0)
	v_mul_lo_u32 v8, s0, v6
	v_mul_lo_u32 v9, s1, v7
	v_mad_u64_u32 v[57:58], s[0:1], s0, v7, v[57:58]
	v_mul_lo_u32 v6, s28, v6
	v_mul_lo_u32 v10, s29, v7
	v_mad_u64_u32 v[1:2], s[0:1], s28, v7, v[1:2]
	s_add_u32 s26, s26, 1
	s_addc_u32 s27, s27, 0
	s_add_u32 s6, s6, 8
	v_add3_u32 v2, v10, v2, v6
	s_addc_u32 s7, s7, 0
	v_mov_b32_e32 v6, s14
	s_add_u32 s22, s22, 8
	v_mov_b32_e32 v7, s15
	s_addc_u32 s23, s23, 0
	v_cmp_ge_u64_e32 vcc, s[26:27], v[6:7]
	s_add_u32 s24, s24, 8
	v_add3_u32 v58, v9, v58, v8
	s_addc_u32 s25, s25, 0
	s_cbranch_vccnz .LBB0_9
; %bb.7:                                ;   in Loop: Header=BB0_2 Depth=1
	v_mov_b32_e32 v8, v4
	v_mov_b32_e32 v7, v3
	s_branch .LBB0_2
.LBB0_8:
	v_mov_b32_e32 v1, v57
	v_mov_b32_e32 v3, v7
	;; [unrolled: 1-line block ×4, first 2 shown]
.LBB0_9:
	s_load_dwordx2 s[0:1], s[4:5], 0x28
	s_lshl_b64 s[14:15], s[14:15], 3
	s_add_u32 s4, s18, s14
	s_addc_u32 s5, s19, s15
                                        ; implicit-def: $sgpr18
                                        ; implicit-def: $vgpr59
	s_waitcnt lgkmcnt(0)
	v_cmp_gt_u64_e32 vcc, s[0:1], v[3:4]
	v_cmp_le_u64_e64 s[0:1], s[0:1], v[3:4]
	s_and_saveexec_b64 s[6:7], s[0:1]
	s_xor_b64 s[0:1], exec, s[6:7]
; %bb.10:
	s_mov_b32 s6, 0x3f03f04
	v_mul_hi_u32 v5, v0, s6
	s_mov_b32 s18, 0
                                        ; implicit-def: $vgpr57_vgpr58
	v_mul_u32_u24_e32 v5, 0x41, v5
	v_sub_u32_e32 v59, v0, v5
                                        ; implicit-def: $vgpr0
; %bb.11:
	s_or_saveexec_b64 s[6:7], s[0:1]
	s_load_dwordx2 s[4:5], s[4:5], 0x0
	v_mov_b32_e32 v6, s18
	v_mov_b32_e32 v5, s18
                                        ; implicit-def: $vgpr38
                                        ; implicit-def: $vgpr46
                                        ; implicit-def: $vgpr42
                                        ; implicit-def: $vgpr34
                                        ; implicit-def: $vgpr26
                                        ; implicit-def: $vgpr18
                                        ; implicit-def: $vgpr12
                                        ; implicit-def: $vgpr30
                                        ; implicit-def: $vgpr20
                                        ; implicit-def: $vgpr14
                                        ; implicit-def: $vgpr22
                                        ; implicit-def: $vgpr16
                                        ; implicit-def: $vgpr8
                                        ; implicit-def: $vgpr56
                                        ; implicit-def: $vgpr50
                                        ; implicit-def: $vgpr44
                                        ; implicit-def: $vgpr36
                                        ; implicit-def: $vgpr28
                                        ; implicit-def: $vgpr10
                                        ; implicit-def: $vgpr54
                                        ; implicit-def: $vgpr52
                                        ; implicit-def: $vgpr48
                                        ; implicit-def: $vgpr40
                                        ; implicit-def: $vgpr32
                                        ; implicit-def: $vgpr24
	s_xor_b64 exec, exec, s[6:7]
	s_cbranch_execz .LBB0_15
; %bb.12:
	s_add_u32 s0, s16, s14
	s_mov_b32 s14, 0x3f03f04
	v_mul_hi_u32 v5, v0, s14
	s_addc_u32 s1, s17, s15
	s_load_dwordx2 s[0:1], s[0:1], 0x0
                                        ; implicit-def: $vgpr55
	v_mul_u32_u24_e32 v5, 0x41, v5
	v_sub_u32_e32 v59, v0, v5
	v_mad_u64_u32 v[5:6], s[14:15], s20, v59, 0
	s_waitcnt lgkmcnt(0)
	v_mul_lo_u32 v11, s1, v3
	v_mul_lo_u32 v12, s0, v4
	v_mad_u64_u32 v[7:8], s[0:1], s0, v3, 0
	v_mov_b32_e32 v0, v6
	v_mad_u64_u32 v[9:10], s[0:1], s21, v59, v[0:1]
	v_add3_u32 v8, v8, v12, v11
	v_lshlrev_b64 v[7:8], 3, v[7:8]
	v_mov_b32_e32 v0, s9
	v_add_co_u32_e64 v11, s[0:1], s8, v7
	v_add_u32_e32 v13, 0x7d, v59
	v_mov_b32_e32 v6, v9
	v_addc_co_u32_e64 v12, s[0:1], v0, v8, s[0:1]
	v_mad_u64_u32 v[9:10], s[0:1], s20, v13, 0
	v_lshlrev_b64 v[7:8], 3, v[57:58]
	v_lshlrev_b64 v[5:6], 3, v[5:6]
	v_add_co_u32_e64 v0, s[0:1], v11, v7
	v_mov_b32_e32 v7, v10
	v_addc_co_u32_e64 v56, s[0:1], v12, v8, s[0:1]
	v_mad_u64_u32 v[7:8], s[0:1], s21, v13, v[7:8]
	v_add_u32_e32 v13, 0xfa, v59
	v_mad_u64_u32 v[11:12], s[0:1], s20, v13, 0
	v_mov_b32_e32 v10, v7
	v_add_co_u32_e64 v5, s[0:1], v0, v5
	v_lshlrev_b64 v[7:8], 3, v[9:10]
	v_mov_b32_e32 v9, v12
	v_addc_co_u32_e64 v6, s[0:1], v56, v6, s[0:1]
	v_mad_u64_u32 v[9:10], s[0:1], s21, v13, v[9:10]
	v_add_u32_e32 v15, 0x177, v59
	v_mad_u64_u32 v[13:14], s[0:1], s20, v15, 0
	v_mov_b32_e32 v12, v9
	v_add_co_u32_e64 v7, s[0:1], v0, v7
	v_lshlrev_b64 v[9:10], 3, v[11:12]
	;; [unrolled: 8-line block ×3, first 2 shown]
	v_mov_b32_e32 v13, v16
	v_addc_co_u32_e64 v10, s[0:1], v56, v10, s[0:1]
	v_mad_u64_u32 v[13:14], s[0:1], s21, v17, v[13:14]
	v_add_u32_e32 v14, 0x271, v59
	v_mad_u64_u32 v[17:18], s[0:1], s20, v14, 0
	v_add_co_u32_e64 v19, s[0:1], v0, v11
	v_mov_b32_e32 v16, v13
	v_mov_b32_e32 v13, v18
	v_addc_co_u32_e64 v20, s[0:1], v56, v12, s[0:1]
	v_lshlrev_b64 v[11:12], 3, v[15:16]
	v_mad_u64_u32 v[13:14], s[0:1], s21, v14, v[13:14]
	v_add_u32_e32 v16, 0x2ee, v59
	v_mad_u64_u32 v[14:15], s[0:1], s20, v16, 0
	v_add_co_u32_e64 v21, s[0:1], v0, v11
	v_mov_b32_e32 v18, v13
	v_mov_b32_e32 v13, v15
	v_addc_co_u32_e64 v22, s[0:1], v56, v12, s[0:1]
	v_lshlrev_b64 v[11:12], 3, v[17:18]
	v_mad_u64_u32 v[15:16], s[0:1], s21, v16, v[13:14]
	v_add_u32_e32 v18, 0x36b, v59
	v_mad_u64_u32 v[16:17], s[0:1], s20, v18, 0
	v_add_co_u32_e64 v27, s[0:1], v0, v11
	v_mov_b32_e32 v13, v17
	v_addc_co_u32_e64 v28, s[0:1], v56, v12, s[0:1]
	v_lshlrev_b64 v[11:12], 3, v[14:15]
	v_mad_u64_u32 v[13:14], s[0:1], s21, v18, v[13:14]
	v_add_u32_e32 v18, 0x3e8, v59
	v_mad_u64_u32 v[14:15], s[0:1], s20, v18, 0
	v_add_co_u32_e64 v29, s[0:1], v0, v11
	v_mov_b32_e32 v17, v13
	v_mov_b32_e32 v13, v15
	v_addc_co_u32_e64 v30, s[0:1], v56, v12, s[0:1]
	v_lshlrev_b64 v[11:12], 3, v[16:17]
	v_mad_u64_u32 v[15:16], s[0:1], s21, v18, v[13:14]
	v_add_u32_e32 v18, 0x465, v59
	v_mad_u64_u32 v[16:17], s[0:1], s20, v18, 0
	v_add_co_u32_e64 v35, s[0:1], v0, v11
	;; [unrolled: 15-line block ×3, first 2 shown]
	v_mov_b32_e32 v13, v17
	v_addc_co_u32_e64 v50, s[0:1], v56, v12, s[0:1]
	v_lshlrev_b64 v[11:12], 3, v[14:15]
	v_mad_u64_u32 v[13:14], s[0:1], s21, v18, v[13:14]
	v_add_u32_e32 v18, 0x5dc, v59
	v_mad_u64_u32 v[14:15], s[0:1], s20, v18, 0
	v_add_co_u32_e64 v57, s[0:1], v0, v11
	v_mov_b32_e32 v17, v13
	v_mov_b32_e32 v13, v15
	v_addc_co_u32_e64 v58, s[0:1], v56, v12, s[0:1]
	v_lshlrev_b64 v[11:12], 3, v[16:17]
	v_mad_u64_u32 v[15:16], s[0:1], s21, v18, v[13:14]
	v_add_co_u32_e64 v61, s[0:1], v0, v11
	v_addc_co_u32_e64 v62, s[0:1], v56, v12, s[0:1]
	v_lshlrev_b64 v[11:12], 3, v[14:15]
                                        ; implicit-def: $vgpr15
	v_add_co_u32_e64 v13, s[0:1], v0, v11
	v_addc_co_u32_e64 v14, s[0:1], v56, v12, s[0:1]
	global_load_dwordx2 v[37:38], v[5:6], off
	global_load_dwordx2 v[45:46], v[7:8], off
	;; [unrolled: 1-line block ×13, first 2 shown]
	v_cmp_gt_u32_e64 s[0:1], 60, v59
	v_mov_b32_e32 v5, 0
	v_mov_b32_e32 v6, 0
                                        ; implicit-def: $vgpr9
                                        ; implicit-def: $vgpr27
                                        ; implicit-def: $vgpr35
                                        ; implicit-def: $vgpr43
                                        ; implicit-def: $vgpr49
                                        ; implicit-def: $vgpr7
                                        ; implicit-def: $vgpr21
                                        ; implicit-def: $vgpr13
                                        ; implicit-def: $vgpr19
                                        ; implicit-def: $vgpr29
	s_and_saveexec_b64 s[8:9], s[0:1]
	s_cbranch_execz .LBB0_14
; %bb.13:
	v_add_u32_e32 v9, 0x41, v59
	v_add_u32_e32 v13, 0xbe, v59
	v_mad_u64_u32 v[5:6], s[0:1], s20, v9, 0
	v_mad_u64_u32 v[7:8], s[0:1], s20, v13, 0
	v_add_u32_e32 v55, 0x4a6, v59
	v_mad_u64_u32 v[9:10], s[0:1], s21, v9, v[6:7]
	v_mov_b32_e32 v6, v9
	v_mad_u64_u32 v[8:9], s[0:1], s21, v13, v[8:9]
	v_add_u32_e32 v13, 0x13b, v59
	v_mad_u64_u32 v[9:10], s[0:1], s20, v13, 0
	v_lshlrev_b64 v[5:6], 3, v[5:6]
	v_add_co_u32_e64 v15, s[0:1], v0, v5
	v_addc_co_u32_e64 v16, s[0:1], v56, v6, s[0:1]
	v_lshlrev_b64 v[5:6], 3, v[7:8]
	v_mov_b32_e32 v7, v10
	v_mad_u64_u32 v[7:8], s[0:1], s21, v13, v[7:8]
	v_add_u32_e32 v8, 0x1b8, v59
	v_mad_u64_u32 v[13:14], s[0:1], s20, v8, 0
	v_add_co_u32_e64 v21, s[0:1], v0, v5
	v_mov_b32_e32 v10, v7
	v_mov_b32_e32 v7, v14
	v_addc_co_u32_e64 v22, s[0:1], v56, v6, s[0:1]
	v_mad_u64_u32 v[7:8], s[0:1], s21, v8, v[7:8]
	v_lshlrev_b64 v[5:6], 3, v[9:10]
	v_add_u32_e32 v10, 0x2b2, v59
	v_add_co_u32_e64 v8, s[0:1], v0, v5
	v_mov_b32_e32 v14, v7
	v_addc_co_u32_e64 v9, s[0:1], v56, v6, s[0:1]
	v_lshlrev_b64 v[5:6], 3, v[13:14]
	v_add_u32_e32 v7, 0x235, v59
	v_mad_u64_u32 v[27:28], s[0:1], s20, v7, 0
	v_add_co_u32_e64 v35, s[0:1], v0, v5
	v_addc_co_u32_e64 v36, s[0:1], v56, v6, s[0:1]
	v_mad_u64_u32 v[43:44], s[0:1], s20, v10, 0
	v_mov_b32_e32 v5, v28
	v_mad_u64_u32 v[28:29], s[0:1], s21, v7, v[5:6]
	global_load_dwordx2 v[5:6], v[15:16], off
	global_load_dwordx2 v[29:30], v[21:22], off
	;; [unrolled: 1-line block ×4, first 2 shown]
	v_mov_b32_e32 v9, v44
	v_mad_u64_u32 v[9:10], s[0:1], s21, v10, v[9:10]
	v_add_u32_e32 v10, 0x32f, v59
	v_mad_u64_u32 v[15:16], s[0:1], s20, v10, 0
	v_lshlrev_b64 v[7:8], 3, v[27:28]
	v_mov_b32_e32 v44, v9
	v_add_co_u32_e64 v27, s[0:1], v0, v7
	v_mov_b32_e32 v9, v16
	v_addc_co_u32_e64 v28, s[0:1], v56, v8, s[0:1]
	v_mad_u64_u32 v[9:10], s[0:1], s21, v10, v[9:10]
	v_add_u32_e32 v10, 0x3ac, v59
	v_mad_u64_u32 v[21:22], s[0:1], s20, v10, 0
	v_lshlrev_b64 v[7:8], 3, v[43:44]
	v_mov_b32_e32 v16, v9
	v_add_co_u32_e64 v35, s[0:1], v0, v7
	v_mov_b32_e32 v9, v22
	v_addc_co_u32_e64 v36, s[0:1], v56, v8, s[0:1]
	v_mad_u64_u32 v[9:10], s[0:1], s21, v10, v[9:10]
	v_lshlrev_b64 v[7:8], 3, v[15:16]
	v_add_co_u32_e64 v43, s[0:1], v0, v7
	v_mov_b32_e32 v22, v9
	v_add_u32_e32 v9, 0x429, v59
	v_addc_co_u32_e64 v44, s[0:1], v56, v8, s[0:1]
	v_mad_u64_u32 v[49:50], s[0:1], s20, v9, 0
	v_lshlrev_b64 v[7:8], 3, v[21:22]
	v_add_co_u32_e64 v57, s[0:1], v0, v7
	v_mov_b32_e32 v7, v50
	v_addc_co_u32_e64 v58, s[0:1], v56, v8, s[0:1]
	v_mad_u64_u32 v[61:62], s[0:1], s21, v9, v[7:8]
	v_mad_u64_u32 v[62:63], s[0:1], s20, v55, 0
	global_load_dwordx2 v[21:22], v[27:28], off
	global_load_dwordx2 v[15:16], v[35:36], off
	;; [unrolled: 1-line block ×4, first 2 shown]
	v_mov_b32_e32 v50, v61
	v_mov_b32_e32 v35, v63
	v_mad_u64_u32 v[35:36], s[0:1], s21, v55, v[35:36]
	v_add_u32_e32 v36, 0x523, v59
	v_mad_u64_u32 v[43:44], s[0:1], s20, v36, 0
	v_lshlrev_b64 v[27:28], 3, v[49:50]
	v_mov_b32_e32 v63, v35
	v_add_co_u32_e64 v57, s[0:1], v0, v27
	v_mov_b32_e32 v35, v44
	v_addc_co_u32_e64 v58, s[0:1], v56, v28, s[0:1]
	v_mad_u64_u32 v[35:36], s[0:1], s21, v36, v[35:36]
	v_add_u32_e32 v36, 0x5a0, v59
	v_mad_u64_u32 v[49:50], s[0:1], s20, v36, 0
	v_lshlrev_b64 v[27:28], 3, v[62:63]
	v_mov_b32_e32 v44, v35
	v_add_co_u32_e64 v61, s[0:1], v0, v27
	v_mov_b32_e32 v35, v50
	v_addc_co_u32_e64 v62, s[0:1], v56, v28, s[0:1]
	v_mad_u64_u32 v[35:36], s[0:1], s21, v36, v[35:36]
	v_lshlrev_b64 v[27:28], 3, v[43:44]
	v_add_co_u32_e64 v63, s[0:1], v0, v27
	v_mov_b32_e32 v50, v35
	v_add_u32_e32 v35, 0x61d, v59
	v_addc_co_u32_e64 v64, s[0:1], v56, v28, s[0:1]
	v_mad_u64_u32 v[65:66], s[0:1], s20, v35, 0
	v_lshlrev_b64 v[27:28], 3, v[49:50]
	v_add_co_u32_e64 v67, s[0:1], v0, v27
	v_mov_b32_e32 v27, v66
	v_addc_co_u32_e64 v68, s[0:1], v56, v28, s[0:1]
	v_mad_u64_u32 v[69:70], s[0:1], s21, v35, v[27:28]
	global_load_dwordx2 v[27:28], v[57:58], off
	global_load_dwordx2 v[35:36], v[61:62], off
	global_load_dwordx2 v[43:44], v[63:64], off
	global_load_dwordx2 v[49:50], v[67:68], off
	v_mov_b32_e32 v66, v69
	v_lshlrev_b64 v[57:58], 3, v[65:66]
	v_add_co_u32_e64 v55, s[0:1], v0, v57
	v_addc_co_u32_e64 v56, s[0:1], v56, v58, s[0:1]
	global_load_dwordx2 v[55:56], v[55:56], off
.LBB0_14:
	s_or_b64 exec, exec, s[8:9]
.LBB0_15:
	s_or_b64 exec, exec, s[6:7]
	v_and_b32_e32 v0, 1, v60
	s_waitcnt vmcnt(0)
	v_sub_f32_e32 v60, v46, v54
	v_mul_f32_e32 v61, 0xbeedf032, v60
	v_mul_f32_e32 v63, 0xbf52af12, v60
	;; [unrolled: 1-line block ×6, first 2 shown]
	v_add_f32_e32 v58, v53, v45
	s_mov_b32 s14, 0x3f62ad3f
	v_mov_b32_e32 v62, v61
	s_mov_b32 s9, 0x3f116cb1
	v_mov_b32_e32 v64, v63
	;; [unrolled: 2-line block ×6, first 2 shown]
	v_mov_b32_e32 v57, 0x659
	v_cmp_eq_u32_e64 s[0:1], 1, v0
	v_fmac_f32_e32 v62, 0x3f62ad3f, v58
	v_fma_f32 v61, v58, s14, -v61
	v_fmac_f32_e32 v64, 0x3f116cb1, v58
	v_fma_f32 v63, v58, s9, -v63
	;; [unrolled: 2-line block ×6, first 2 shown]
	v_sub_f32_e32 v60, v42, v52
	v_cndmask_b32_e64 v0, 0, v57, s[0:1]
	v_add_f32_e32 v57, v37, v45
	v_add_f32_e32 v62, v62, v37
	;; [unrolled: 1-line block ×14, first 2 shown]
	v_mul_f32_e32 v72, 0xbf52af12, v60
	v_mov_b32_e32 v73, v72
	v_fma_f32 v72, v58, s9, -v72
	v_fmac_f32_e32 v73, 0x3f116cb1, v58
	v_add_f32_e32 v61, v61, v72
	v_mul_f32_e32 v72, 0xbf6f5d39, v60
	v_add_f32_e32 v62, v62, v73
	v_mov_b32_e32 v73, v72
	v_fma_f32 v72, v58, s15, -v72
	v_fmac_f32_e32 v73, 0xbeb58ec6, v58
	v_add_f32_e32 v63, v63, v72
	v_mul_f32_e32 v72, 0xbe750f2a, v60
	v_add_f32_e32 v64, v64, v73
	v_mov_b32_e32 v73, v72
	v_fma_f32 v72, v58, s17, -v72
	v_fmac_f32_e32 v73, 0xbf788fa5, v58
	v_add_f32_e32 v65, v65, v72
	v_mul_f32_e32 v72, 0x3f29c268, v60
	v_add_f32_e32 v66, v66, v73
	v_mov_b32_e32 v73, v72
	v_fma_f32 v72, v58, s16, -v72
	v_fmac_f32_e32 v73, 0xbf3f9e67, v58
	v_add_f32_e32 v67, v67, v72
	v_mul_f32_e32 v72, 0x3f7e222b, v60
	v_add_f32_e32 v68, v68, v73
	v_mov_b32_e32 v73, v72
	v_fma_f32 v72, v58, s8, -v72
	v_mul_f32_e32 v60, 0x3eedf032, v60
	v_add_f32_e32 v69, v69, v72
	v_mov_b32_e32 v72, v60
	v_fmac_f32_e32 v73, 0x3df6dbef, v58
	v_fmac_f32_e32 v72, 0x3f62ad3f, v58
	v_fma_f32 v58, v58, s14, -v60
	v_sub_f32_e32 v60, v34, v48
	v_add_f32_e32 v71, v71, v72
	v_add_f32_e32 v37, v37, v58
	v_add_f32_e32 v58, v47, v33
	v_mul_f32_e32 v72, 0xbf7e222b, v60
	v_add_f32_e32 v70, v70, v73
	v_mov_b32_e32 v73, v72
	v_fma_f32 v72, v58, s8, -v72
	v_fmac_f32_e32 v73, 0x3df6dbef, v58
	v_add_f32_e32 v61, v61, v72
	v_mul_f32_e32 v72, 0xbe750f2a, v60
	v_add_f32_e32 v62, v62, v73
	v_mov_b32_e32 v73, v72
	v_fma_f32 v72, v58, s17, -v72
	v_fmac_f32_e32 v73, 0xbf788fa5, v58
	v_add_f32_e32 v63, v63, v72
	v_mul_f32_e32 v72, 0x3f6f5d39, v60
	v_add_f32_e32 v64, v64, v73
	v_mov_b32_e32 v73, v72
	v_fma_f32 v72, v58, s15, -v72
	v_fmac_f32_e32 v73, 0xbeb58ec6, v58
	v_add_f32_e32 v65, v65, v72
	v_mul_f32_e32 v72, 0x3eedf032, v60
	v_add_f32_e32 v66, v66, v73
	v_mov_b32_e32 v73, v72
	v_fma_f32 v72, v58, s14, -v72
	v_fmac_f32_e32 v73, 0x3f62ad3f, v58
	v_add_f32_e32 v67, v67, v72
	v_mul_f32_e32 v72, 0xbf52af12, v60
	v_add_f32_e32 v68, v68, v73
	v_mov_b32_e32 v73, v72
	v_fma_f32 v72, v58, s9, -v72
	v_mul_f32_e32 v60, 0xbf29c268, v60
	v_add_f32_e32 v69, v69, v72
	v_mov_b32_e32 v72, v60
	v_fmac_f32_e32 v73, 0x3f116cb1, v58
	v_fmac_f32_e32 v72, 0xbf3f9e67, v58
	v_fma_f32 v58, v58, s16, -v60
	v_sub_f32_e32 v60, v26, v40
	v_add_f32_e32 v71, v71, v72
	v_add_f32_e32 v37, v37, v58
	v_add_f32_e32 v58, v39, v25
	v_mul_f32_e32 v72, 0xbf6f5d39, v60
	v_add_f32_e32 v70, v70, v73
	;; [unrolled: 38-line block ×4, first 2 shown]
	v_mov_b32_e32 v73, v72
	v_fma_f32 v72, v58, s17, -v72
	v_fmac_f32_e32 v73, 0xbf788fa5, v58
	v_add_f32_e32 v61, v61, v72
	v_mul_f32_e32 v72, 0x3eedf032, v60
	v_add_f32_e32 v57, v57, v41
	v_add_f32_e32 v62, v62, v73
	v_mov_b32_e32 v73, v72
	v_fma_f32 v72, v58, s14, -v72
	v_add_f32_e32 v57, v57, v33
	v_fmac_f32_e32 v73, 0x3f62ad3f, v58
	v_add_f32_e32 v63, v63, v72
	v_mul_f32_e32 v72, 0xbf29c268, v60
	v_add_f32_e32 v57, v57, v25
	v_add_f32_e32 v64, v64, v73
	v_mov_b32_e32 v73, v72
	v_fma_f32 v72, v58, s16, -v72
	v_add_f32_e32 v57, v57, v17
	;; [unrolled: 8-line block ×3, first 2 shown]
	v_fmac_f32_e32 v73, 0x3f116cb1, v58
	v_add_f32_e32 v67, v67, v72
	v_mul_f32_e32 v72, 0xbf6f5d39, v60
	v_add_f32_e32 v57, v31, v57
	v_add_f32_e32 v68, v68, v73
	v_mov_b32_e32 v73, v72
	v_fma_f32 v72, v58, s15, -v72
	v_mul_f32_e32 v60, 0x3f7e222b, v60
	v_add_f32_e32 v57, v39, v57
	v_add_f32_e32 v69, v69, v72
	v_mov_b32_e32 v72, v60
	v_add_f32_e32 v57, v47, v57
	v_fmac_f32_e32 v73, 0xbeb58ec6, v58
	v_fmac_f32_e32 v72, 0x3df6dbef, v58
	v_fma_f32 v58, v58, s8, -v60
	v_add_f32_e32 v57, v51, v57
	v_add_f32_e32 v37, v37, v58
	v_mad_u32_u24 v58, v59, 52, 0
	v_add_f32_e32 v57, v53, v57
	v_add_f32_e32 v72, v71, v72
	v_lshl_add_u32 v71, v0, 2, v58
	v_cmp_gt_u32_e64 s[0:1], 60, v59
	v_add_f32_e32 v70, v70, v73
	ds_write2_b32 v71, v57, v62 offset1:1
	ds_write2_b32 v71, v64, v66 offset0:2 offset1:3
	ds_write2_b32 v71, v68, v70 offset0:4 offset1:5
	;; [unrolled: 1-line block ×5, first 2 shown]
	ds_write_b32 v71, v61 offset:48
	s_and_saveexec_b64 s[6:7], s[0:1]
	s_cbranch_execz .LBB0_17
; %bb.16:
	v_add_f32_e32 v37, v29, v55
	v_mul_f32_e32 v57, 0xbf788fa5, v37
	v_add_f32_e32 v61, v19, v49
	v_sub_f32_e32 v58, v30, v56
	v_mov_b32_e32 v60, v57
	v_mul_f32_e32 v62, 0x3f62ad3f, v61
	v_fmac_f32_e32 v60, 0x3e750f2a, v58
	v_sub_f32_e32 v63, v20, v50
	v_mov_b32_e32 v64, v62
	v_add_f32_e32 v60, v5, v60
	v_fmac_f32_e32 v64, 0xbeedf032, v63
	v_add_f32_e32 v60, v60, v64
	v_add_f32_e32 v64, v13, v43
	v_mul_f32_e32 v65, 0xbf3f9e67, v64
	v_sub_f32_e32 v66, v14, v44
	v_mov_b32_e32 v67, v65
	v_fmac_f32_e32 v67, 0x3f29c268, v66
	v_add_f32_e32 v60, v60, v67
	v_add_f32_e32 v67, v21, v35
	v_mul_f32_e32 v68, 0x3f116cb1, v67
	v_sub_f32_e32 v69, v22, v36
	v_mov_b32_e32 v70, v68
	v_fmac_f32_e32 v70, 0xbf52af12, v69
	v_fmac_f32_e32 v57, 0xbe750f2a, v58
	v_add_f32_e32 v60, v60, v70
	v_add_f32_e32 v70, v15, v27
	;; [unrolled: 1-line block ×3, first 2 shown]
	v_fmac_f32_e32 v62, 0x3eedf032, v63
	v_mul_f32_e32 v72, 0xbeb58ec6, v70
	v_add_f32_e32 v57, v57, v62
	v_fmac_f32_e32 v65, 0xbf29c268, v66
	v_sub_f32_e32 v73, v16, v28
	v_mov_b32_e32 v74, v72
	v_add_f32_e32 v57, v57, v65
	v_fmac_f32_e32 v68, 0x3f52af12, v69
	v_mul_f32_e32 v62, 0xbf3f9e67, v37
	v_fmac_f32_e32 v74, 0x3f6f5d39, v73
	v_add_f32_e32 v57, v57, v68
	v_fmac_f32_e32 v72, 0xbf6f5d39, v73
	v_mov_b32_e32 v65, v62
	v_mul_f32_e32 v68, 0x3df6dbef, v61
	v_add_f32_e32 v60, v60, v74
	v_add_f32_e32 v74, v7, v9
	v_add_f32_e32 v57, v57, v72
	v_fmac_f32_e32 v65, 0x3f29c268, v58
	v_mov_b32_e32 v72, v68
	v_mul_f32_e32 v75, 0x3df6dbef, v74
	v_sub_f32_e32 v76, v8, v10
	v_add_f32_e32 v65, v5, v65
	v_fmac_f32_e32 v72, 0xbf7e222b, v63
	v_mov_b32_e32 v77, v75
	v_fmac_f32_e32 v75, 0x3f7e222b, v76
	v_add_f32_e32 v65, v65, v72
	v_mul_f32_e32 v72, 0x3f116cb1, v64
	v_add_f32_e32 v57, v57, v75
	v_mov_b32_e32 v75, v72
	v_fmac_f32_e32 v75, 0x3f52af12, v66
	v_fmac_f32_e32 v77, 0xbf7e222b, v76
	v_add_f32_e32 v65, v65, v75
	v_mul_f32_e32 v75, 0xbf788fa5, v67
	v_fmac_f32_e32 v62, 0xbf29c268, v58
	v_add_f32_e32 v60, v60, v77
	v_mov_b32_e32 v77, v75
	v_add_f32_e32 v62, v5, v62
	v_fmac_f32_e32 v68, 0x3f7e222b, v63
	v_fmac_f32_e32 v77, 0xbe750f2a, v69
	v_add_f32_e32 v62, v62, v68
	v_fmac_f32_e32 v72, 0xbf52af12, v66
	v_add_f32_e32 v65, v65, v77
	v_mul_f32_e32 v77, 0x3f62ad3f, v70
	v_add_f32_e32 v62, v62, v72
	v_fmac_f32_e32 v75, 0x3e750f2a, v69
	v_mul_f32_e32 v68, 0xbeb58ec6, v37
	v_mov_b32_e32 v78, v77
	v_add_f32_e32 v62, v62, v75
	v_fmac_f32_e32 v77, 0x3eedf032, v73
	v_mov_b32_e32 v72, v68
	v_mul_f32_e32 v75, 0xbf3f9e67, v61
	v_fmac_f32_e32 v78, 0xbeedf032, v73
	v_add_f32_e32 v62, v62, v77
	v_fmac_f32_e32 v72, 0x3f6f5d39, v58
	v_mov_b32_e32 v77, v75
	v_add_f32_e32 v65, v65, v78
	v_mul_f32_e32 v78, 0xbeb58ec6, v74
	v_add_f32_e32 v72, v5, v72
	v_fmac_f32_e32 v77, 0xbf29c268, v63
	v_mov_b32_e32 v79, v78
	v_fmac_f32_e32 v78, 0xbf6f5d39, v76
	v_add_f32_e32 v72, v72, v77
	v_mul_f32_e32 v77, 0x3f62ad3f, v64
	v_add_f32_e32 v62, v62, v78
	v_mov_b32_e32 v78, v77
	v_fmac_f32_e32 v78, 0xbeedf032, v66
	v_fmac_f32_e32 v79, 0x3f6f5d39, v76
	v_add_f32_e32 v72, v72, v78
	v_mul_f32_e32 v78, 0x3df6dbef, v67
	v_fmac_f32_e32 v68, 0xbf6f5d39, v58
	v_add_f32_e32 v65, v65, v79
	v_mov_b32_e32 v79, v78
	v_add_f32_e32 v68, v5, v68
	v_fmac_f32_e32 v75, 0x3f29c268, v63
	v_fmac_f32_e32 v79, 0x3f7e222b, v69
	v_add_f32_e32 v68, v68, v75
	v_fmac_f32_e32 v77, 0x3eedf032, v66
	v_add_f32_e32 v72, v72, v79
	v_mul_f32_e32 v79, 0xbf788fa5, v70
	v_add_f32_e32 v68, v68, v77
	v_fmac_f32_e32 v78, 0xbf7e222b, v69
	v_mul_f32_e32 v75, 0x3df6dbef, v37
	v_mov_b32_e32 v80, v79
	v_add_f32_e32 v68, v68, v78
	v_fmac_f32_e32 v79, 0x3e750f2a, v73
	v_mov_b32_e32 v77, v75
	v_mul_f32_e32 v78, 0xbf788fa5, v61
	v_fmac_f32_e32 v80, 0xbe750f2a, v73
	v_add_f32_e32 v68, v68, v79
	v_fmac_f32_e32 v77, 0x3f7e222b, v58
	v_mov_b32_e32 v79, v78
	v_add_f32_e32 v72, v72, v80
	v_mul_f32_e32 v80, 0x3f116cb1, v74
	v_add_f32_e32 v77, v5, v77
	v_fmac_f32_e32 v79, 0x3e750f2a, v63
	v_mov_b32_e32 v81, v80
	v_fmac_f32_e32 v80, 0x3f52af12, v76
	v_add_f32_e32 v77, v77, v79
	v_mul_f32_e32 v79, 0xbeb58ec6, v64
	v_add_f32_e32 v68, v68, v80
	v_mov_b32_e32 v80, v79
	v_fmac_f32_e32 v80, 0xbf6f5d39, v66
	v_fmac_f32_e32 v81, 0xbf52af12, v76
	v_add_f32_e32 v77, v77, v80
	v_mul_f32_e32 v80, 0x3f62ad3f, v67
	v_fmac_f32_e32 v75, 0xbf7e222b, v58
	v_add_f32_e32 v72, v72, v81
	v_mov_b32_e32 v81, v80
	v_add_f32_e32 v75, v5, v75
	v_fmac_f32_e32 v78, 0xbe750f2a, v63
	v_fmac_f32_e32 v81, 0xbeedf032, v69
	v_add_f32_e32 v75, v75, v78
	v_fmac_f32_e32 v79, 0x3f6f5d39, v66
	v_add_f32_e32 v77, v77, v81
	v_mul_f32_e32 v81, 0x3f116cb1, v70
	v_add_f32_e32 v75, v75, v79
	v_fmac_f32_e32 v80, 0x3eedf032, v69
	v_mul_f32_e32 v78, 0x3f116cb1, v37
	v_mov_b32_e32 v82, v81
	v_add_f32_e32 v75, v75, v80
	v_fmac_f32_e32 v81, 0xbf52af12, v73
	v_mov_b32_e32 v79, v78
	v_mul_f32_e32 v80, 0xbeb58ec6, v61
	v_fmac_f32_e32 v78, 0xbf52af12, v58
	v_add_f32_e32 v75, v75, v81
	v_mov_b32_e32 v81, v80
	v_add_f32_e32 v78, v5, v78
	v_fmac_f32_e32 v80, 0xbf6f5d39, v63
	v_mul_f32_e32 v37, 0x3f62ad3f, v37
	v_fmac_f32_e32 v82, 0x3f52af12, v73
	v_fmac_f32_e32 v79, 0x3f52af12, v58
	v_add_f32_e32 v78, v78, v80
	v_mov_b32_e32 v80, v37
	v_add_f32_e32 v77, v77, v82
	v_mul_f32_e32 v82, 0xbf3f9e67, v74
	v_add_f32_e32 v79, v5, v79
	v_fmac_f32_e32 v81, 0x3f6f5d39, v63
	v_fmac_f32_e32 v80, 0x3eedf032, v58
	;; [unrolled: 1-line block ×3, first 2 shown]
	v_mov_b32_e32 v83, v82
	v_fmac_f32_e32 v82, 0xbf29c268, v76
	v_add_f32_e32 v79, v79, v81
	v_mul_f32_e32 v81, 0xbf788fa5, v64
	v_add_f32_e32 v80, v5, v80
	v_add_f32_e32 v37, v5, v37
	;; [unrolled: 1-line block ×4, first 2 shown]
	v_mov_b32_e32 v82, v81
	v_fmac_f32_e32 v81, 0xbe750f2a, v66
	v_mul_f32_e32 v61, 0x3f116cb1, v61
	v_add_f32_e32 v5, v5, v19
	v_fmac_f32_e32 v82, 0x3e750f2a, v66
	v_add_f32_e32 v78, v78, v81
	v_mov_b32_e32 v81, v61
	v_add_f32_e32 v5, v5, v13
	v_fmac_f32_e32 v83, 0x3f29c268, v76
	v_add_f32_e32 v79, v79, v82
	v_mul_f32_e32 v82, 0xbf3f9e67, v67
	v_fmac_f32_e32 v81, 0x3f52af12, v63
	v_mul_f32_e32 v64, 0x3df6dbef, v64
	v_add_f32_e32 v5, v5, v21
	v_add_f32_e32 v77, v77, v83
	v_mov_b32_e32 v83, v82
	v_add_f32_e32 v80, v80, v81
	v_mov_b32_e32 v81, v64
	v_add_f32_e32 v5, v5, v15
	v_fmac_f32_e32 v83, 0xbf29c268, v69
	v_fmac_f32_e32 v81, 0x3f7e222b, v66
	v_mul_f32_e32 v67, 0xbeb58ec6, v67
	v_add_f32_e32 v5, v5, v7
	v_add_f32_e32 v79, v79, v83
	v_mul_f32_e32 v83, 0x3df6dbef, v70
	v_add_f32_e32 v80, v80, v81
	v_mov_b32_e32 v81, v67
	v_fmac_f32_e32 v61, 0xbf52af12, v63
	v_add_f32_e32 v5, v5, v9
	v_mov_b32_e32 v84, v83
	v_fmac_f32_e32 v81, 0x3f6f5d39, v69
	v_mul_f32_e32 v70, 0xbf3f9e67, v70
	v_add_f32_e32 v37, v37, v61
	v_fmac_f32_e32 v64, 0xbf7e222b, v66
	v_add_f32_e32 v5, v27, v5
	v_fmac_f32_e32 v84, 0xbf7e222b, v73
	v_add_f32_e32 v80, v80, v81
	v_mov_b32_e32 v81, v70
	v_add_f32_e32 v37, v37, v64
	v_fmac_f32_e32 v67, 0xbf6f5d39, v69
	v_add_f32_e32 v5, v35, v5
	v_add_f32_e32 v79, v79, v84
	v_mul_f32_e32 v84, 0x3f62ad3f, v74
	v_fmac_f32_e32 v82, 0x3f29c268, v69
	v_fmac_f32_e32 v81, 0x3f29c268, v73
	v_mul_f32_e32 v74, 0xbf788fa5, v74
	v_add_f32_e32 v37, v37, v67
	v_fmac_f32_e32 v70, 0xbf29c268, v73
	v_add_f32_e32 v5, v43, v5
	v_add_f32_e32 v78, v78, v82
	v_fmac_f32_e32 v83, 0x3f7e222b, v73
	v_add_f32_e32 v80, v80, v81
	v_mov_b32_e32 v81, v74
	v_add_f32_e32 v37, v37, v70
	v_fmac_f32_e32 v74, 0xbe750f2a, v76
	v_add_f32_e32 v5, v49, v5
	v_mov_b32_e32 v85, v84
	v_add_f32_e32 v78, v78, v83
	v_fmac_f32_e32 v84, 0x3eedf032, v76
	v_add_f32_e32 v37, v37, v74
	v_add_f32_e32 v5, v55, v5
	v_add_u32_e32 v58, 0xd34, v71
	v_add_f32_e32 v78, v78, v84
	ds_write2_b32 v58, v5, v37 offset1:1
	v_add_u32_e32 v5, 0xd3c, v71
	ds_write2_b32 v5, v78, v75 offset1:1
	v_add_u32_e32 v5, 0xd44, v71
	;; [unrolled: 2-line block ×3, first 2 shown]
	v_fmac_f32_e32 v85, 0xbeedf032, v76
	ds_write2_b32 v5, v57, v60 offset1:1
	v_add_u32_e32 v5, 0xd54, v71
	v_add_f32_e32 v79, v79, v85
	v_fmac_f32_e32 v81, 0x3e750f2a, v76
	ds_write2_b32 v5, v65, v72 offset1:1
	v_add_u32_e32 v5, 0xd5c, v71
	v_add_f32_e32 v80, v80, v81
	ds_write2_b32 v5, v77, v79 offset1:1
	ds_write_b32 v71, v80 offset:3428
.LBB0_17:
	s_or_b64 exec, exec, s[6:7]
	v_add_f32_e32 v5, v38, v46
	v_add_f32_e32 v5, v5, v42
	;; [unrolled: 1-line block ×11, first 2 shown]
	v_sub_f32_e32 v37, v45, v53
	v_add_f32_e32 v72, v54, v5
	v_add_f32_e32 v5, v54, v46
	v_mul_f32_e32 v45, 0xbeedf032, v37
	v_mul_f32_e32 v53, 0xbf52af12, v37
	;; [unrolled: 1-line block ×6, first 2 shown]
	v_fma_f32 v46, v5, s14, -v45
	v_fmac_f32_e32 v45, 0x3f62ad3f, v5
	v_fma_f32 v54, v5, s9, -v53
	v_fmac_f32_e32 v53, 0x3f116cb1, v5
	;; [unrolled: 2-line block ×6, first 2 shown]
	v_add_f32_e32 v46, v46, v38
	v_add_f32_e32 v45, v45, v38
	;; [unrolled: 1-line block ×12, first 2 shown]
	v_sub_f32_e32 v38, v41, v51
	v_add_f32_e32 v37, v52, v42
	v_mul_f32_e32 v41, 0xbf52af12, v38
	v_fma_f32 v42, v37, s9, -v41
	v_fmac_f32_e32 v41, 0x3f116cb1, v37
	v_add_f32_e32 v41, v45, v41
	v_mul_f32_e32 v45, 0xbf6f5d39, v38
	v_add_f32_e32 v42, v46, v42
	v_fma_f32 v46, v37, s15, -v45
	v_fmac_f32_e32 v45, 0xbeb58ec6, v37
	v_mul_f32_e32 v51, 0xbe750f2a, v38
	v_add_f32_e32 v45, v53, v45
	v_fma_f32 v52, v37, s17, -v51
	v_fmac_f32_e32 v51, 0xbf788fa5, v37
	v_mul_f32_e32 v53, 0x3f29c268, v38
	v_add_f32_e32 v46, v54, v46
	v_add_f32_e32 v51, v57, v51
	v_fma_f32 v54, v37, s16, -v53
	v_fmac_f32_e32 v53, 0xbf3f9e67, v37
	v_mul_f32_e32 v57, 0x3f7e222b, v38
	v_mul_f32_e32 v38, 0x3eedf032, v38
	v_sub_f32_e32 v33, v33, v47
	v_add_f32_e32 v52, v58, v52
	v_add_f32_e32 v53, v60, v53
	v_fma_f32 v58, v37, s8, -v57
	v_fmac_f32_e32 v57, 0x3df6dbef, v37
	v_fma_f32 v60, v37, s14, -v38
	v_fmac_f32_e32 v38, 0x3f62ad3f, v37
	v_add_f32_e32 v34, v48, v34
	v_mul_f32_e32 v37, 0xbf7e222b, v33
	v_add_f32_e32 v5, v5, v38
	v_fma_f32 v38, v34, s8, -v37
	v_fmac_f32_e32 v37, 0x3df6dbef, v34
	v_add_f32_e32 v37, v41, v37
	v_mul_f32_e32 v41, 0xbe750f2a, v33
	v_add_f32_e32 v38, v42, v38
	v_fma_f32 v42, v34, s17, -v41
	v_fmac_f32_e32 v41, 0xbf788fa5, v34
	v_add_f32_e32 v41, v45, v41
	v_mul_f32_e32 v45, 0x3f6f5d39, v33
	v_add_f32_e32 v42, v46, v42
	v_fma_f32 v46, v34, s15, -v45
	v_fmac_f32_e32 v45, 0xbeb58ec6, v34
	v_mul_f32_e32 v47, 0x3eedf032, v33
	v_add_f32_e32 v45, v51, v45
	v_fma_f32 v48, v34, s14, -v47
	v_fmac_f32_e32 v47, 0x3f62ad3f, v34
	v_mul_f32_e32 v51, 0xbf52af12, v33
	v_mul_f32_e32 v33, 0xbf29c268, v33
	v_add_f32_e32 v47, v53, v47
	v_fma_f32 v53, v34, s16, -v33
	v_fmac_f32_e32 v33, 0xbf3f9e67, v34
	v_sub_f32_e32 v25, v25, v39
	v_add_f32_e32 v5, v5, v33
	v_add_f32_e32 v26, v40, v26
	v_mul_f32_e32 v33, 0xbf6f5d39, v25
	v_add_f32_e32 v46, v52, v46
	v_fma_f32 v52, v34, s9, -v51
	v_fmac_f32_e32 v51, 0x3f116cb1, v34
	v_fma_f32 v34, v26, s15, -v33
	v_fmac_f32_e32 v33, 0xbeb58ec6, v26
	v_add_f32_e32 v33, v37, v33
	v_mul_f32_e32 v37, 0x3f29c268, v25
	v_add_f32_e32 v34, v38, v34
	v_fma_f32 v38, v26, s16, -v37
	v_fmac_f32_e32 v37, 0xbf3f9e67, v26
	v_mul_f32_e32 v39, 0x3eedf032, v25
	v_add_f32_e32 v37, v41, v37
	v_fma_f32 v40, v26, s14, -v39
	v_fmac_f32_e32 v39, 0x3f62ad3f, v26
	v_mul_f32_e32 v41, 0xbf7e222b, v25
	v_add_f32_e32 v38, v42, v38
	v_add_f32_e32 v39, v45, v39
	v_fma_f32 v42, v26, s8, -v41
	v_fmac_f32_e32 v41, 0x3df6dbef, v26
	v_mul_f32_e32 v45, 0x3e750f2a, v25
	v_mul_f32_e32 v25, 0x3f52af12, v25
	v_add_f32_e32 v41, v47, v41
	v_fma_f32 v47, v26, s9, -v25
	v_fmac_f32_e32 v25, 0x3f116cb1, v26
	v_sub_f32_e32 v17, v17, v31
	v_add_f32_e32 v5, v5, v25
	v_add_f32_e32 v18, v32, v18
	v_mul_f32_e32 v25, 0xbf29c268, v17
	v_add_f32_e32 v40, v46, v40
	v_fma_f32 v46, v26, s17, -v45
	v_fmac_f32_e32 v45, 0xbf788fa5, v26
	v_fma_f32 v26, v18, s16, -v25
	v_fmac_f32_e32 v25, 0xbf3f9e67, v18
	v_mul_f32_e32 v31, 0x3f7e222b, v17
	v_add_f32_e32 v25, v33, v25
	v_fma_f32 v32, v18, s8, -v31
	v_fmac_f32_e32 v31, 0x3df6dbef, v18
	v_mul_f32_e32 v33, 0xbf52af12, v17
	v_add_f32_e32 v26, v34, v26
	v_add_f32_e32 v31, v37, v31
	v_fma_f32 v34, v18, s9, -v33
	v_fmac_f32_e32 v33, 0x3f116cb1, v18
	v_mul_f32_e32 v37, 0x3e750f2a, v17
	v_add_f32_e32 v32, v38, v32
	v_add_f32_e32 v33, v39, v33
	v_fma_f32 v38, v18, s17, -v37
	v_fmac_f32_e32 v37, 0xbf788fa5, v18
	v_mul_f32_e32 v39, 0x3eedf032, v17
	v_mul_f32_e32 v17, 0xbf6f5d39, v17
	v_add_f32_e32 v37, v41, v37
	v_fma_f32 v41, v18, s15, -v17
	v_fmac_f32_e32 v17, 0xbeb58ec6, v18
	v_sub_f32_e32 v11, v11, v23
	v_add_f32_e32 v5, v5, v17
	v_add_f32_e32 v12, v24, v12
	v_mul_f32_e32 v17, 0xbe750f2a, v11
	v_add_f32_e32 v34, v40, v34
	v_fma_f32 v40, v18, s14, -v39
	v_fmac_f32_e32 v39, 0x3f62ad3f, v18
	v_fma_f32 v18, v12, s17, -v17
	v_fmac_f32_e32 v17, 0xbf788fa5, v12
	v_add_f32_e32 v74, v25, v17
	v_mul_f32_e32 v17, 0x3eedf032, v11
	v_add_f32_e32 v73, v26, v18
	v_fma_f32 v18, v12, s14, -v17
	v_fmac_f32_e32 v17, 0x3f62ad3f, v12
	v_add_f32_e32 v76, v31, v17
	v_mul_f32_e32 v17, 0xbf29c268, v11
	v_add_f32_e32 v54, v61, v54
	v_add_f32_e32 v75, v32, v18
	v_fma_f32 v18, v12, s16, -v17
	v_fmac_f32_e32 v17, 0xbf3f9e67, v12
	v_add_f32_e32 v57, v62, v57
	v_add_f32_e32 v48, v54, v48
	;; [unrolled: 1-line block ×3, first 2 shown]
	v_mul_f32_e32 v17, 0x3f52af12, v11
	v_add_f32_e32 v51, v57, v51
	v_add_f32_e32 v42, v48, v42
	;; [unrolled: 1-line block ×3, first 2 shown]
	v_fma_f32 v18, v12, s9, -v17
	v_fmac_f32_e32 v17, 0x3f116cb1, v12
	v_add_f32_e32 v45, v51, v45
	v_add_f32_e32 v38, v42, v38
	;; [unrolled: 1-line block ×3, first 2 shown]
	v_mul_f32_e32 v17, 0xbf6f5d39, v11
	v_add_f32_e32 v39, v45, v39
	v_add_f32_e32 v79, v38, v18
	v_fma_f32 v18, v12, s15, -v17
	v_fmac_f32_e32 v17, 0xbeb58ec6, v12
	v_mul_f32_e32 v11, 0x3f7e222b, v11
	v_add_f32_e32 v58, v63, v58
	v_add_f32_e32 v60, v64, v60
	;; [unrolled: 1-line block ×3, first 2 shown]
	v_fma_f32 v17, v12, s8, -v11
	v_fmac_f32_e32 v11, 0x3df6dbef, v12
	v_add_f32_e32 v52, v58, v52
	v_add_f32_e32 v53, v60, v53
	;; [unrolled: 1-line block ×3, first 2 shown]
	v_lshlrev_b32_e32 v62, 2, v0
	v_lshlrev_b32_e32 v5, 2, v59
	v_add_f32_e32 v46, v52, v46
	v_add_f32_e32 v47, v53, v47
	v_add3_u32 v53, 0, v5, v62
	v_add_f32_e32 v40, v46, v40
	v_add_f32_e32 v41, v47, v41
	v_add3_u32 v0, 0, v62, v5
	v_add_u32_e32 v57, 0x400, v53
	v_add_u32_e32 v58, 0x800, v53
	;; [unrolled: 1-line block ×11, first 2 shown]
	v_add_f32_e32 v81, v40, v18
	v_add_f32_e32 v83, v41, v17
	s_waitcnt lgkmcnt(0)
	s_barrier
	ds_read_b32 v70, v0
	ds_read2_b32 v[51:52], v57 offset0:69 offset1:134
	ds_read2_b32 v[25:26], v58 offset0:73 offset1:138
	;; [unrolled: 1-line block ×12, first 2 shown]
	v_add_u32_e32 v54, 0x41, v59
	s_waitcnt lgkmcnt(0)
	s_barrier
	ds_write2_b32 v71, v72, v73 offset1:1
	ds_write2_b32 v71, v75, v77 offset0:2 offset1:3
	ds_write2_b32 v71, v79, v81 offset0:4 offset1:5
	;; [unrolled: 1-line block ×5, first 2 shown]
	ds_write_b32 v71, v74 offset:48
	s_and_saveexec_b64 s[6:7], s[0:1]
	s_cbranch_execz .LBB0_19
; %bb.18:
	v_add_f32_e32 v71, v6, v30
	v_add_f32_e32 v71, v71, v20
	;; [unrolled: 1-line block ×10, first 2 shown]
	v_sub_f32_e32 v29, v29, v55
	v_add_f32_e32 v71, v50, v71
	v_add_f32_e32 v30, v30, v56
	v_mul_f32_e32 v55, 0xbeedf032, v29
	s_mov_b32 s8, 0x3f62ad3f
	v_mul_f32_e32 v72, 0xbf52af12, v29
	s_mov_b32 s1, 0x3f116cb1
	;; [unrolled: 2-line block ×6, first 2 shown]
	v_add_f32_e32 v71, v56, v71
	v_fma_f32 v56, v30, s8, -v55
	v_fmac_f32_e32 v55, 0x3f62ad3f, v30
	v_fma_f32 v73, v30, s1, -v72
	v_fmac_f32_e32 v72, 0x3f116cb1, v30
	;; [unrolled: 2-line block ×6, first 2 shown]
	v_sub_f32_e32 v19, v19, v49
	v_add_f32_e32 v56, v6, v56
	v_add_f32_e32 v55, v6, v55
	;; [unrolled: 1-line block ×13, first 2 shown]
	v_mul_f32_e32 v29, 0xbf52af12, v19
	v_fma_f32 v30, v20, s1, -v29
	v_fmac_f32_e32 v29, 0x3f116cb1, v20
	v_mul_f32_e32 v49, 0xbf6f5d39, v19
	v_add_f32_e32 v29, v55, v29
	v_fma_f32 v50, v20, s9, -v49
	v_fmac_f32_e32 v49, 0xbeb58ec6, v20
	v_mul_f32_e32 v55, 0xbe750f2a, v19
	v_add_f32_e32 v30, v56, v30
	v_add_f32_e32 v49, v72, v49
	v_fma_f32 v56, v20, s15, -v55
	v_fmac_f32_e32 v55, 0xbf788fa5, v20
	v_mul_f32_e32 v72, 0x3f29c268, v19
	v_add_f32_e32 v50, v73, v50
	v_add_f32_e32 v55, v74, v55
	v_fma_f32 v73, v20, s14, -v72
	v_fmac_f32_e32 v72, 0xbf3f9e67, v20
	v_mul_f32_e32 v74, 0x3f7e222b, v19
	v_mul_f32_e32 v19, 0x3eedf032, v19
	v_add_f32_e32 v72, v76, v72
	v_fma_f32 v76, v20, s8, -v19
	v_fmac_f32_e32 v19, 0x3f62ad3f, v20
	v_sub_f32_e32 v13, v13, v43
	v_add_f32_e32 v6, v6, v19
	v_add_f32_e32 v14, v14, v44
	v_mul_f32_e32 v19, 0xbf7e222b, v13
	v_add_f32_e32 v56, v75, v56
	v_fma_f32 v75, v20, s0, -v74
	v_fmac_f32_e32 v74, 0x3df6dbef, v20
	v_fma_f32 v20, v14, s0, -v19
	v_fmac_f32_e32 v19, 0x3df6dbef, v14
	v_add_f32_e32 v19, v29, v19
	v_mul_f32_e32 v29, 0xbe750f2a, v13
	v_add_f32_e32 v20, v30, v20
	v_fma_f32 v30, v14, s15, -v29
	v_fmac_f32_e32 v29, 0xbf788fa5, v14
	v_mul_f32_e32 v43, 0x3f6f5d39, v13
	v_add_f32_e32 v29, v49, v29
	v_fma_f32 v44, v14, s9, -v43
	v_fmac_f32_e32 v43, 0xbeb58ec6, v14
	v_mul_f32_e32 v49, 0x3eedf032, v13
	v_add_f32_e32 v30, v50, v30
	v_add_f32_e32 v43, v55, v43
	v_fma_f32 v50, v14, s8, -v49
	v_fmac_f32_e32 v49, 0x3f62ad3f, v14
	v_mul_f32_e32 v55, 0xbf52af12, v13
	v_mul_f32_e32 v13, 0xbf29c268, v13
	v_add_f32_e32 v44, v56, v44
	v_add_f32_e32 v49, v72, v49
	v_fma_f32 v56, v14, s1, -v55
	v_fmac_f32_e32 v55, 0x3f116cb1, v14
	v_fma_f32 v72, v14, s14, -v13
	v_fmac_f32_e32 v13, 0xbf3f9e67, v14
	v_sub_f32_e32 v14, v21, v35
	v_add_f32_e32 v6, v6, v13
	v_add_f32_e32 v13, v22, v36
	v_mul_f32_e32 v21, 0xbf6f5d39, v14
	v_fma_f32 v22, v13, s9, -v21
	v_fmac_f32_e32 v21, 0xbeb58ec6, v13
	v_add_f32_e32 v19, v19, v21
	v_mul_f32_e32 v21, 0x3f29c268, v14
	v_add_f32_e32 v20, v20, v22
	v_fma_f32 v22, v13, s14, -v21
	v_fmac_f32_e32 v21, 0xbf3f9e67, v13
	v_add_f32_e32 v21, v29, v21
	v_mul_f32_e32 v29, 0x3eedf032, v14
	v_add_f32_e32 v22, v30, v22
	v_fma_f32 v30, v13, s8, -v29
	v_fmac_f32_e32 v29, 0x3f62ad3f, v13
	v_mul_f32_e32 v35, 0xbf7e222b, v14
	v_add_f32_e32 v29, v43, v29
	v_fma_f32 v36, v13, s0, -v35
	v_fmac_f32_e32 v35, 0x3df6dbef, v13
	v_mul_f32_e32 v43, 0x3e750f2a, v14
	v_mul_f32_e32 v14, 0x3f52af12, v14
	v_add_f32_e32 v35, v49, v35
	v_fma_f32 v49, v13, s1, -v14
	v_fmac_f32_e32 v14, 0x3f116cb1, v13
	v_add_f32_e32 v6, v6, v14
	v_sub_f32_e32 v14, v15, v27
	v_add_f32_e32 v30, v44, v30
	v_fma_f32 v44, v13, s15, -v43
	v_fmac_f32_e32 v43, 0xbf788fa5, v13
	v_add_f32_e32 v13, v16, v28
	v_mul_f32_e32 v15, 0xbf29c268, v14
	v_fma_f32 v16, v13, s14, -v15
	v_fmac_f32_e32 v15, 0xbf3f9e67, v13
	v_add_f32_e32 v15, v19, v15
	v_mul_f32_e32 v19, 0x3f7e222b, v14
	v_add_f32_e32 v16, v20, v16
	v_fma_f32 v20, v13, s0, -v19
	v_fmac_f32_e32 v19, 0x3df6dbef, v13
	v_add_f32_e32 v19, v21, v19
	v_mul_f32_e32 v21, 0xbf52af12, v14
	v_add_f32_e32 v20, v22, v20
	v_fma_f32 v22, v13, s1, -v21
	v_fmac_f32_e32 v21, 0x3f116cb1, v13
	v_mul_f32_e32 v27, 0x3e750f2a, v14
	v_sub_f32_e32 v7, v7, v9
	v_add_f32_e32 v21, v29, v21
	v_fma_f32 v28, v13, s15, -v27
	v_fmac_f32_e32 v27, 0xbf788fa5, v13
	v_mul_f32_e32 v29, 0x3eedf032, v14
	v_mul_f32_e32 v14, 0xbf6f5d39, v14
	v_add_f32_e32 v8, v8, v10
	v_mul_f32_e32 v9, 0xbe750f2a, v7
	v_add_f32_e32 v22, v30, v22
	v_add_f32_e32 v27, v35, v27
	v_fma_f32 v30, v13, s8, -v29
	v_fmac_f32_e32 v29, 0x3f62ad3f, v13
	v_fma_f32 v35, v13, s9, -v14
	v_fmac_f32_e32 v14, 0xbeb58ec6, v13
	;; [unrolled: 2-line block ×3, first 2 shown]
	v_mul_f32_e32 v13, 0x3eedf032, v7
	v_add_f32_e32 v6, v6, v14
	v_add_f32_e32 v9, v15, v9
	v_fma_f32 v14, v8, s8, -v13
	v_fmac_f32_e32 v13, 0x3f62ad3f, v8
	v_mul_f32_e32 v15, 0xbf29c268, v7
	v_add_f32_e32 v10, v16, v10
	v_add_f32_e32 v13, v19, v13
	v_fma_f32 v16, v8, s14, -v15
	v_fmac_f32_e32 v15, 0xbf3f9e67, v8
	v_mul_f32_e32 v19, 0x3f52af12, v7
	v_add_f32_e32 v73, v77, v73
	v_add_f32_e32 v75, v79, v75
	v_add_f32_e32 v74, v78, v74
	v_add_f32_e32 v76, v80, v76
	v_add_f32_e32 v14, v20, v14
	v_add_f32_e32 v15, v21, v15
	v_fma_f32 v20, v8, s1, -v19
	v_fmac_f32_e32 v19, 0x3f116cb1, v8
	v_mul_f32_e32 v21, 0xbf6f5d39, v7
	v_mul_f32_e32 v7, 0x3f7e222b, v7
	v_add_f32_e32 v50, v73, v50
	v_add_f32_e32 v56, v75, v56
	;; [unrolled: 1-line block ×5, first 2 shown]
	v_fma_f32 v27, v8, s0, -v7
	v_fmac_f32_e32 v7, 0x3df6dbef, v8
	v_add_f32_e32 v36, v50, v36
	v_add_f32_e32 v44, v56, v44
	;; [unrolled: 1-line block ×5, first 2 shown]
	v_mul_u32_u24_e32 v7, 52, v54
	v_add_f32_e32 v28, v36, v28
	v_add_f32_e32 v30, v44, v30
	;; [unrolled: 1-line block ×5, first 2 shown]
	v_fma_f32 v22, v8, s9, -v21
	v_fmac_f32_e32 v21, 0xbeb58ec6, v8
	v_add3_u32 v7, 0, v7, v62
	v_add_f32_e32 v20, v28, v20
	v_add_f32_e32 v22, v30, v22
	;; [unrolled: 1-line block ×4, first 2 shown]
	ds_write2_b32 v7, v71, v10 offset1:1
	ds_write2_b32 v7, v14, v16 offset0:2 offset1:3
	ds_write2_b32 v7, v20, v22 offset0:4 offset1:5
	;; [unrolled: 1-line block ×5, first 2 shown]
	ds_write_b32 v7, v9 offset:48
.LBB0_19:
	s_or_b64 exec, exec, s[6:7]
	s_movk_i32 s0, 0x4f
	v_mul_lo_u16_sdwa v6, v59, s0 dst_sel:DWORD dst_unused:UNUSED_PAD src0_sel:BYTE_0 src1_sel:DWORD
	v_lshrrev_b16_e32 v8, 10, v6
	v_mul_lo_u16_e32 v6, 13, v8
	v_sub_u16_e32 v22, v59, v6
	v_mov_b32_e32 v15, 5
	v_lshlrev_b32_sdwa v6, v15, v22 dst_sel:DWORD dst_unused:UNUSED_PAD src0_sel:DWORD src1_sel:BYTE_0
	s_waitcnt lgkmcnt(0)
	s_barrier
	global_load_dwordx4 v[71:74], v6, s[12:13]
	global_load_dwordx4 v[75:78], v6, s[12:13] offset:16
	v_mul_lo_u16_sdwa v6, v54, s0 dst_sel:DWORD dst_unused:UNUSED_PAD src0_sel:BYTE_0 src1_sel:DWORD
	v_lshrrev_b16_e32 v9, 10, v6
	v_mul_lo_u16_e32 v6, 13, v9
	v_sub_u16_e32 v56, v54, v6
	v_lshlrev_b32_sdwa v6, v15, v56 dst_sel:DWORD dst_unused:UNUSED_PAD src0_sel:DWORD src1_sel:BYTE_0
	v_add_u32_e32 v27, 0x82, v59
	global_load_dwordx4 v[79:82], v6, s[12:13]
	global_load_dwordx4 v[83:86], v6, s[12:13] offset:16
	v_mul_lo_u16_sdwa v6, v27, s0 dst_sel:DWORD dst_unused:UNUSED_PAD src0_sel:BYTE_0 src1_sel:DWORD
	v_lshrrev_b16_e32 v10, 10, v6
	v_mul_lo_u16_e32 v6, 13, v10
	v_sub_u16_e32 v121, v27, v6
	v_lshlrev_b32_sdwa v6, v15, v121 dst_sel:DWORD dst_unused:UNUSED_PAD src0_sel:DWORD src1_sel:BYTE_0
	v_add_u32_e32 v28, 0xc3, v59
	s_movk_i32 s1, 0x4ec5
	global_load_dwordx4 v[87:90], v6, s[12:13]
	global_load_dwordx4 v[91:94], v6, s[12:13] offset:16
	v_mul_u32_u24_sdwa v6, v28, s1 dst_sel:DWORD dst_unused:UNUSED_PAD src0_sel:WORD_0 src1_sel:DWORD
	v_lshrrev_b32_e32 v20, 18, v6
	v_mul_lo_u16_e32 v6, 13, v20
	v_sub_u16_e32 v122, v28, v6
	v_lshlrev_b32_e32 v6, 5, v122
	v_add_u32_e32 v55, 0x104, v59
	global_load_dwordx4 v[95:98], v6, s[12:13]
	ds_read_b32 v16, v0
	ds_read2_b32 v[29:30], v57 offset0:69 offset1:134
	global_load_dwordx4 v[99:102], v6, s[12:13] offset:16
	v_mul_u32_u24_sdwa v6, v55, s1 dst_sel:DWORD dst_unused:UNUSED_PAD src0_sel:WORD_0 src1_sel:DWORD
	v_lshrrev_b32_e32 v21, 18, v6
	v_mul_lo_u16_e32 v6, 13, v21
	v_sub_u16_e32 v123, v55, v6
	v_lshlrev_b32_e32 v6, 5, v123
	ds_read2_b32 v[35:36], v58 offset0:73 offset1:138
	ds_read2_b32 v[43:44], v60 offset0:79 offset1:144
	global_load_dwordx4 v[103:106], v6, s[12:13] offset:16
	global_load_dwordx4 v[107:110], v6, s[12:13]
	ds_read2_b32 v[49:50], v61 offset0:83 offset1:148
	ds_read2_b32 v[13:14], v53 offset0:65 offset1:130
	;; [unrolled: 1-line block ×8, first 2 shown]
	s_movk_i32 s0, 0x104
	v_mad_u32_u24 v8, v8, s0, 0
	v_mad_u32_u24 v9, v9, s0, 0
	s_waitcnt vmcnt(9)
	v_mul_f32_e32 v19, v51, v72
	s_waitcnt lgkmcnt(10)
	v_mul_f32_e32 v124, v29, v72
	s_waitcnt lgkmcnt(9)
	v_mul_f32_e32 v72, v36, v74
	v_mul_f32_e32 v74, v26, v74
	v_fma_f32 v29, v29, v71, -v19
	s_waitcnt vmcnt(8)
	v_mul_f32_e32 v19, v47, v76
	v_fmac_f32_e32 v72, v26, v73
	v_fma_f32 v26, v36, v73, -v74
	s_waitcnt lgkmcnt(8)
	v_mul_f32_e32 v36, v43, v76
	v_fma_f32 v43, v43, v75, -v19
	v_mov_b32_e32 v19, 2
	v_fmac_f32_e32 v36, v47, v75
	v_lshlrev_b32_sdwa v47, v19, v56 dst_sel:DWORD dst_unused:UNUSED_PAD src0_sel:DWORD src1_sel:BYTE_0
	s_waitcnt vmcnt(7)
	v_mul_f32_e32 v56, v30, v80
	v_fmac_f32_e32 v56, v52, v79
	v_mul_f32_e32 v52, v52, v80
	v_fmac_f32_e32 v124, v51, v71
	s_waitcnt lgkmcnt(7)
	v_mul_f32_e32 v71, v50, v78
	v_mul_f32_e32 v51, v24, v78
	s_waitcnt lgkmcnt(5)
	v_mul_f32_e32 v73, v111, v82
	v_fma_f32 v30, v30, v79, -v52
	v_mul_f32_e32 v52, v45, v82
	s_waitcnt vmcnt(6)
	v_mul_f32_e32 v74, v44, v84
	v_fmac_f32_e32 v71, v24, v77
	v_fma_f32 v24, v50, v77, -v51
	ds_read2_b32 v[50:51], v69 offset0:87 offset1:152
	v_fmac_f32_e32 v73, v45, v81
	v_fma_f32 v45, v111, v81, -v52
	v_mul_f32_e32 v52, v48, v84
	v_fmac_f32_e32 v74, v48, v83
	s_waitcnt lgkmcnt(5)
	v_mul_f32_e32 v48, v113, v86
	v_fmac_f32_e32 v48, v41, v85
	v_mul_f32_e32 v41, v41, v86
	s_waitcnt vmcnt(5) lgkmcnt(4)
	v_mul_f32_e32 v75, v115, v88
	v_add_f32_e32 v86, v72, v36
	v_fmac_f32_e32 v75, v39, v87
	v_mul_f32_e32 v39, v39, v88
	v_mul_f32_e32 v76, v112, v90
	s_waitcnt vmcnt(4) lgkmcnt(3)
	v_mul_f32_e32 v77, v117, v92
	v_fma_f32 v86, -0.5, v86, v70
	v_fma_f32 v41, v113, v85, -v41
	v_fma_f32 v39, v115, v87, -v39
	v_fmac_f32_e32 v76, v46, v89
	v_mul_f32_e32 v46, v46, v90
	v_fmac_f32_e32 v77, v37, v91
	v_mul_f32_e32 v37, v37, v92
	s_waitcnt vmcnt(1)
	v_mul_f32_e32 v85, v49, v104
	v_sub_f32_e32 v87, v29, v24
	v_mov_b32_e32 v88, v86
	v_fma_f32 v46, v112, v89, -v46
	v_fma_f32 v37, v117, v91, -v37
	v_fmac_f32_e32 v85, v23, v103
	v_mul_f32_e32 v23, v23, v104
	v_fmac_f32_e32 v88, 0xbf737871, v87
	v_sub_f32_e32 v89, v26, v43
	v_sub_f32_e32 v90, v124, v72
	;; [unrolled: 1-line block ×3, first 2 shown]
	v_fmac_f32_e32 v86, 0x3f737871, v87
	v_fma_f32 v23, v49, v103, -v23
	s_waitcnt lgkmcnt(0)
	v_mul_f32_e32 v49, v51, v106
	v_fmac_f32_e32 v88, 0xbf167918, v89
	v_add_f32_e32 v90, v90, v91
	v_fmac_f32_e32 v86, 0x3f167918, v89
	v_fmac_f32_e32 v49, v32, v105
	v_mul_f32_e32 v32, v32, v106
	v_fmac_f32_e32 v88, 0x3e9e377a, v90
	v_fmac_f32_e32 v86, 0x3e9e377a, v90
	v_add_f32_e32 v90, v124, v71
	v_fma_f32 v32, v51, v105, -v32
	v_add_f32_e32 v51, v70, v124
	v_fmac_f32_e32 v70, -0.5, v90
	v_mov_b32_e32 v90, v70
	v_fmac_f32_e32 v90, 0x3f737871, v89
	v_fmac_f32_e32 v70, 0xbf737871, v89
	;; [unrolled: 1-line block ×4, first 2 shown]
	v_add_f32_e32 v87, v16, v29
	v_add_f32_e32 v87, v87, v26
	v_mul_f32_e32 v78, v114, v94
	v_sub_f32_e32 v91, v72, v124
	v_sub_f32_e32 v92, v36, v71
	v_add_f32_e32 v87, v87, v43
	v_fmac_f32_e32 v78, v42, v93
	v_mul_f32_e32 v42, v42, v94
	v_add_f32_e32 v51, v51, v72
	v_add_f32_e32 v91, v91, v92
	;; [unrolled: 1-line block ×4, first 2 shown]
	v_fma_f32 v42, v114, v93, -v42
	v_add_f32_e32 v51, v51, v36
	v_fma_f32 v93, -0.5, v87, v16
	v_add_f32_e32 v51, v51, v71
	v_sub_f32_e32 v71, v124, v71
	v_mov_b32_e32 v94, v93
	v_fmac_f32_e32 v94, 0x3f737871, v71
	v_sub_f32_e32 v36, v72, v36
	v_sub_f32_e32 v72, v29, v26
	;; [unrolled: 1-line block ×3, first 2 shown]
	v_fmac_f32_e32 v93, 0xbf737871, v71
	v_fmac_f32_e32 v94, 0x3f167918, v36
	v_add_f32_e32 v72, v72, v87
	v_fmac_f32_e32 v93, 0xbf167918, v36
	v_fmac_f32_e32 v94, 0x3e9e377a, v72
	;; [unrolled: 1-line block ×3, first 2 shown]
	v_add_f32_e32 v72, v29, v24
	v_sub_f32_e32 v26, v26, v29
	v_sub_f32_e32 v24, v43, v24
	v_fmac_f32_e32 v16, -0.5, v72
	v_add_f32_e32 v24, v26, v24
	v_add_f32_e32 v26, v73, v74
	v_mov_b32_e32 v72, v16
	v_fma_f32 v26, -0.5, v26, v11
	v_fma_f32 v44, v44, v83, -v52
	v_fmac_f32_e32 v72, 0xbf737871, v36
	v_fmac_f32_e32 v16, 0x3f737871, v36
	v_sub_f32_e32 v29, v30, v41
	v_mov_b32_e32 v36, v26
	v_fmac_f32_e32 v72, 0x3f167918, v71
	v_fmac_f32_e32 v16, 0xbf167918, v71
	;; [unrolled: 1-line block ×3, first 2 shown]
	v_sub_f32_e32 v43, v45, v44
	v_sub_f32_e32 v71, v56, v73
	v_sub_f32_e32 v87, v48, v74
	v_fmac_f32_e32 v26, 0x3f737871, v29
	v_fmac_f32_e32 v36, 0xbf167918, v43
	v_add_f32_e32 v71, v71, v87
	v_fmac_f32_e32 v26, 0x3f167918, v43
	v_fmac_f32_e32 v36, 0x3e9e377a, v71
	;; [unrolled: 1-line block ×3, first 2 shown]
	v_add_f32_e32 v71, v56, v48
	v_fmac_f32_e32 v72, 0x3e9e377a, v24
	v_fmac_f32_e32 v16, 0x3e9e377a, v24
	v_add_f32_e32 v24, v11, v56
	v_fma_f32 v11, -0.5, v71, v11
	v_mov_b32_e32 v71, v11
	v_add_f32_e32 v24, v24, v73
	v_fmac_f32_e32 v71, 0x3f737871, v43
	v_fmac_f32_e32 v11, 0xbf737871, v43
	v_add_f32_e32 v43, v45, v44
	v_add_f32_e32 v24, v24, v74
	v_sub_f32_e32 v87, v73, v56
	v_sub_f32_e32 v89, v74, v48
	v_fma_f32 v43, -0.5, v43, v13
	v_add_f32_e32 v24, v24, v48
	v_fmac_f32_e32 v71, 0xbf167918, v29
	v_add_f32_e32 v87, v87, v89
	v_fmac_f32_e32 v11, 0x3f167918, v29
	v_add_f32_e32 v29, v13, v30
	v_sub_f32_e32 v48, v56, v48
	v_mov_b32_e32 v56, v43
	v_fmac_f32_e32 v71, 0x3e9e377a, v87
	v_fmac_f32_e32 v11, 0x3e9e377a, v87
	v_add_f32_e32 v29, v29, v45
	v_fmac_f32_e32 v56, 0x3f737871, v48
	v_sub_f32_e32 v73, v73, v74
	v_sub_f32_e32 v74, v30, v45
	;; [unrolled: 1-line block ×3, first 2 shown]
	v_fmac_f32_e32 v43, 0xbf737871, v48
	v_add_f32_e32 v29, v29, v44
	v_fmac_f32_e32 v56, 0x3f167918, v73
	v_add_f32_e32 v74, v74, v87
	v_fmac_f32_e32 v43, 0xbf167918, v73
	v_mul_f32_e32 v80, v116, v96
	v_add_f32_e32 v29, v29, v41
	v_fmac_f32_e32 v56, 0x3e9e377a, v74
	v_fmac_f32_e32 v43, 0x3e9e377a, v74
	v_add_f32_e32 v74, v30, v41
	v_sub_f32_e32 v30, v45, v30
	v_sub_f32_e32 v41, v44, v41
	v_fmac_f32_e32 v80, v40, v95
	v_mul_f32_e32 v40, v40, v96
	v_fma_f32 v13, -0.5, v74, v13
	v_add_f32_e32 v30, v30, v41
	v_add_f32_e32 v41, v76, v77
	v_fma_f32 v40, v116, v95, -v40
	v_mov_b32_e32 v95, v13
	v_fma_f32 v41, -0.5, v41, v12
	v_fmac_f32_e32 v95, 0xbf737871, v73
	v_fmac_f32_e32 v13, 0x3f737871, v73
	v_sub_f32_e32 v44, v39, v42
	v_mov_b32_e32 v45, v41
	v_fmac_f32_e32 v95, 0x3f167918, v48
	v_fmac_f32_e32 v13, 0xbf167918, v48
	;; [unrolled: 1-line block ×3, first 2 shown]
	v_sub_f32_e32 v48, v46, v37
	v_sub_f32_e32 v73, v75, v76
	;; [unrolled: 1-line block ×3, first 2 shown]
	v_fmac_f32_e32 v41, 0x3f737871, v44
	v_fmac_f32_e32 v45, 0xbf167918, v48
	v_add_f32_e32 v73, v73, v74
	v_fmac_f32_e32 v41, 0x3f167918, v48
	v_fmac_f32_e32 v45, 0x3e9e377a, v73
	;; [unrolled: 1-line block ×3, first 2 shown]
	v_add_f32_e32 v73, v75, v78
	v_fmac_f32_e32 v95, 0x3e9e377a, v30
	v_fmac_f32_e32 v13, 0x3e9e377a, v30
	v_add_f32_e32 v30, v12, v75
	v_fmac_f32_e32 v12, -0.5, v73
	v_mov_b32_e32 v73, v12
	v_fmac_f32_e32 v73, 0x3f737871, v48
	v_sub_f32_e32 v74, v76, v75
	v_sub_f32_e32 v87, v77, v78
	v_fmac_f32_e32 v12, 0xbf737871, v48
	v_add_f32_e32 v48, v46, v37
	v_fmac_f32_e32 v73, 0xbf167918, v44
	v_add_f32_e32 v74, v74, v87
	v_fmac_f32_e32 v12, 0x3f167918, v44
	v_fma_f32 v48, -0.5, v48, v14
	v_add_f32_e32 v30, v30, v76
	v_fmac_f32_e32 v73, 0x3e9e377a, v74
	v_fmac_f32_e32 v12, 0x3e9e377a, v74
	v_sub_f32_e32 v74, v75, v78
	v_mov_b32_e32 v96, v48
	v_add_f32_e32 v30, v30, v77
	v_add_f32_e32 v44, v14, v39
	v_fmac_f32_e32 v96, 0x3f737871, v74
	v_sub_f32_e32 v75, v76, v77
	v_sub_f32_e32 v76, v39, v46
	;; [unrolled: 1-line block ×3, first 2 shown]
	v_fmac_f32_e32 v48, 0xbf737871, v74
	v_mul_f32_e32 v81, v119, v98
	v_mul_f32_e32 v82, v118, v100
	v_add_f32_e32 v44, v44, v46
	v_fmac_f32_e32 v96, 0x3f167918, v75
	v_add_f32_e32 v76, v76, v77
	v_fmac_f32_e32 v48, 0xbf167918, v75
	v_fmac_f32_e32 v81, v33, v97
	;; [unrolled: 1-line block ×3, first 2 shown]
	v_mul_f32_e32 v83, v50, v102
	v_add_f32_e32 v44, v44, v37
	v_fmac_f32_e32 v96, 0x3e9e377a, v76
	v_fmac_f32_e32 v48, 0x3e9e377a, v76
	v_add_f32_e32 v76, v39, v42
	v_sub_f32_e32 v39, v46, v39
	v_sub_f32_e32 v37, v37, v42
	v_mul_f32_e32 v33, v33, v98
	v_fmac_f32_e32 v83, v31, v101
	v_mul_f32_e32 v31, v31, v102
	v_fmac_f32_e32 v14, -0.5, v76
	v_add_f32_e32 v37, v39, v37
	v_add_f32_e32 v39, v81, v82
	v_fma_f32 v33, v119, v97, -v33
	v_mul_f32_e32 v38, v38, v100
	v_fma_f32 v31, v50, v101, -v31
	v_mov_b32_e32 v97, v14
	v_fma_f32 v39, -0.5, v39, v17
	v_fma_f32 v38, v118, v99, -v38
	v_add_f32_e32 v44, v44, v42
	v_fmac_f32_e32 v97, 0xbf737871, v75
	v_fmac_f32_e32 v14, 0x3f737871, v75
	v_sub_f32_e32 v42, v40, v31
	v_mov_b32_e32 v46, v39
	v_fmac_f32_e32 v97, 0x3f167918, v74
	v_fmac_f32_e32 v14, 0xbf167918, v74
	;; [unrolled: 1-line block ×3, first 2 shown]
	v_sub_f32_e32 v74, v33, v38
	v_sub_f32_e32 v75, v80, v81
	;; [unrolled: 1-line block ×3, first 2 shown]
	v_fmac_f32_e32 v39, 0x3f737871, v42
	v_fmac_f32_e32 v46, 0xbf167918, v74
	v_add_f32_e32 v75, v75, v76
	v_fmac_f32_e32 v39, 0x3f167918, v74
	v_fmac_f32_e32 v46, 0x3e9e377a, v75
	;; [unrolled: 1-line block ×3, first 2 shown]
	v_add_f32_e32 v75, v80, v83
	v_fmac_f32_e32 v97, 0x3e9e377a, v37
	v_fmac_f32_e32 v14, 0x3e9e377a, v37
	v_add_f32_e32 v37, v17, v80
	v_fma_f32 v17, -0.5, v75, v17
	v_mov_b32_e32 v75, v17
	v_fmac_f32_e32 v75, 0x3f737871, v74
	v_fmac_f32_e32 v17, 0xbf737871, v74
	v_add_f32_e32 v74, v33, v38
	v_sub_f32_e32 v76, v81, v80
	v_sub_f32_e32 v77, v82, v83
	v_fma_f32 v98, -0.5, v74, v6
	s_waitcnt vmcnt(0)
	v_mul_f32_e32 v84, v35, v108
	v_fmac_f32_e32 v75, 0xbf167918, v42
	v_add_f32_e32 v76, v76, v77
	v_fmac_f32_e32 v17, 0x3f167918, v42
	v_add_f32_e32 v42, v6, v40
	v_sub_f32_e32 v74, v80, v83
	v_mov_b32_e32 v99, v98
	v_fmac_f32_e32 v84, v25, v107
	v_mul_f32_e32 v25, v25, v108
	v_add_f32_e32 v30, v30, v78
	v_fmac_f32_e32 v75, 0x3e9e377a, v76
	v_fmac_f32_e32 v17, 0x3e9e377a, v76
	v_add_f32_e32 v42, v42, v33
	v_fmac_f32_e32 v99, 0x3f737871, v74
	v_sub_f32_e32 v76, v81, v82
	v_sub_f32_e32 v77, v40, v33
	;; [unrolled: 1-line block ×3, first 2 shown]
	v_fmac_f32_e32 v98, 0xbf737871, v74
	v_fma_f32 v25, v35, v107, -v25
	v_mul_f32_e32 v35, v120, v110
	v_add_f32_e32 v42, v42, v38
	v_fmac_f32_e32 v99, 0x3f167918, v76
	v_add_f32_e32 v77, v77, v78
	v_fmac_f32_e32 v98, 0xbf167918, v76
	v_fmac_f32_e32 v35, v34, v109
	v_add_f32_e32 v42, v42, v31
	v_fmac_f32_e32 v99, 0x3e9e377a, v77
	v_fmac_f32_e32 v98, 0x3e9e377a, v77
	v_add_f32_e32 v77, v40, v31
	v_sub_f32_e32 v33, v33, v40
	v_sub_f32_e32 v31, v38, v31
	v_fma_f32 v6, -0.5, v77, v6
	v_add_f32_e32 v31, v33, v31
	v_add_f32_e32 v33, v35, v85
	v_mul_f32_e32 v34, v34, v110
	v_mov_b32_e32 v100, v6
	v_fma_f32 v33, -0.5, v33, v18
	v_fma_f32 v34, v120, v109, -v34
	v_fmac_f32_e32 v100, 0xbf737871, v76
	v_fmac_f32_e32 v6, 0x3f737871, v76
	v_sub_f32_e32 v38, v25, v32
	v_mov_b32_e32 v40, v33
	v_fmac_f32_e32 v100, 0x3f167918, v74
	v_fmac_f32_e32 v6, 0xbf167918, v74
	;; [unrolled: 1-line block ×3, first 2 shown]
	v_sub_f32_e32 v74, v34, v23
	v_sub_f32_e32 v76, v84, v35
	v_sub_f32_e32 v77, v49, v85
	v_fmac_f32_e32 v33, 0x3f737871, v38
	v_fmac_f32_e32 v40, 0xbf167918, v74
	v_add_f32_e32 v76, v76, v77
	v_fmac_f32_e32 v33, 0x3f167918, v74
	v_fmac_f32_e32 v40, 0x3e9e377a, v76
	;; [unrolled: 1-line block ×3, first 2 shown]
	v_add_f32_e32 v76, v84, v49
	v_fmac_f32_e32 v100, 0x3e9e377a, v31
	v_fmac_f32_e32 v6, 0x3e9e377a, v31
	v_add_f32_e32 v31, v18, v84
	v_fmac_f32_e32 v18, -0.5, v76
	v_mov_b32_e32 v76, v18
	v_add_f32_e32 v31, v31, v35
	v_fmac_f32_e32 v76, 0x3f737871, v74
	v_fmac_f32_e32 v18, 0xbf737871, v74
	v_add_f32_e32 v74, v34, v23
	v_add_f32_e32 v31, v31, v85
	v_sub_f32_e32 v77, v35, v84
	v_sub_f32_e32 v78, v85, v49
	v_fma_f32 v101, -0.5, v74, v7
	v_add_f32_e32 v31, v31, v49
	v_fmac_f32_e32 v76, 0xbf167918, v38
	v_add_f32_e32 v77, v77, v78
	v_fmac_f32_e32 v18, 0x3f167918, v38
	v_sub_f32_e32 v49, v84, v49
	v_mov_b32_e32 v102, v101
	v_fmac_f32_e32 v76, 0x3e9e377a, v77
	v_fmac_f32_e32 v18, 0x3e9e377a, v77
	;; [unrolled: 1-line block ×3, first 2 shown]
	v_sub_f32_e32 v35, v35, v85
	v_sub_f32_e32 v74, v25, v34
	v_sub_f32_e32 v77, v32, v23
	v_fmac_f32_e32 v101, 0xbf737871, v49
	v_fmac_f32_e32 v102, 0x3f167918, v35
	v_add_f32_e32 v74, v74, v77
	v_fmac_f32_e32 v101, 0xbf167918, v35
	v_fmac_f32_e32 v102, 0x3e9e377a, v74
	;; [unrolled: 1-line block ×3, first 2 shown]
	v_add_f32_e32 v74, v25, v32
	v_add_f32_e32 v38, v7, v25
	v_fmac_f32_e32 v7, -0.5, v74
	v_add_f32_e32 v38, v38, v34
	v_mov_b32_e32 v103, v7
	v_lshlrev_b32_sdwa v22, v19, v22 dst_sel:DWORD dst_unused:UNUSED_PAD src0_sel:DWORD src1_sel:BYTE_0
	v_add_f32_e32 v38, v38, v23
	v_fmac_f32_e32 v103, 0xbf737871, v35
	v_sub_f32_e32 v25, v34, v25
	v_sub_f32_e32 v23, v23, v32
	v_fmac_f32_e32 v7, 0x3f737871, v35
	v_lshlrev_b32_sdwa v52, v19, v121 dst_sel:DWORD dst_unused:UNUSED_PAD src0_sel:DWORD src1_sel:BYTE_0
	v_fmac_f32_e32 v103, 0x3f167918, v49
	v_add_f32_e32 v23, v25, v23
	v_fmac_f32_e32 v7, 0xbf167918, v49
	v_add3_u32 v8, v8, v22, v62
	v_add3_u32 v22, v9, v47, v62
	v_mad_u32_u24 v9, v10, s0, 0
	v_lshlrev_b32_e32 v79, 2, v122
	v_add_f32_e32 v37, v37, v81
	v_fmac_f32_e32 v103, 0x3e9e377a, v23
	v_fmac_f32_e32 v7, 0x3e9e377a, v23
	v_add3_u32 v23, v9, v52, v62
	v_mad_u32_u24 v9, v20, s0, 0
	v_lshlrev_b32_e32 v50, 2, v123
	v_add_f32_e32 v37, v37, v82
	v_add3_u32 v20, v9, v79, v62
	v_mad_u32_u24 v9, v21, s0, 0
	v_fmac_f32_e32 v90, 0x3e9e377a, v91
	v_add_f32_e32 v37, v37, v83
	v_add3_u32 v21, v9, v50, v62
	v_fmac_f32_e32 v70, 0x3e9e377a, v91
	v_add_f32_e32 v38, v38, v32
	s_barrier
	ds_write2_b32 v8, v51, v88 offset1:13
	ds_write2_b32 v8, v90, v70 offset0:26 offset1:39
	ds_write_b32 v8, v86 offset:208
	ds_write2_b32 v22, v24, v36 offset1:13
	ds_write2_b32 v22, v71, v11 offset0:26 offset1:39
	ds_write_b32 v22, v26 offset:208
	;; [unrolled: 3-line block ×5, first 2 shown]
	s_waitcnt lgkmcnt(0)
	s_barrier
	ds_read_b32 v17, v0
	ds_read2_b32 v[24:25], v57 offset0:69 offset1:134
	ds_read2_b32 v[74:75], v58 offset0:73 offset1:138
	;; [unrolled: 1-line block ×12, first 2 shown]
	s_waitcnt lgkmcnt(0)
	s_barrier
	ds_write2_b32 v8, v92, v94 offset1:13
	ds_write2_b32 v8, v72, v16 offset0:26 offset1:39
	ds_write_b32 v8, v93 offset:208
	ds_write2_b32 v22, v29, v56 offset1:13
	ds_write2_b32 v22, v95, v13 offset0:26 offset1:39
	ds_write_b32 v22, v43 offset:208
	;; [unrolled: 3-line block ×5, first 2 shown]
	v_mov_b32_e32 v6, 0
	v_lshlrev_b64 v[7:8], 3, v[5:6]
	v_mov_b32_e32 v5, s13
	v_add_co_u32_e64 v7, s[0:1], s12, v7
	v_addc_co_u32_e64 v8, s[0:1], v5, v8, s[0:1]
	s_waitcnt lgkmcnt(0)
	s_barrier
	global_load_dwordx4 v[20:23], v[7:8], off offset:416
	global_load_dwordx4 v[29:32], v[7:8], off offset:432
	s_movk_i32 s0, 0xfd
	v_mul_lo_u16_sdwa v5, v27, s0 dst_sel:DWORD dst_unused:UNUSED_PAD src0_sel:BYTE_0 src1_sel:DWORD
	v_lshrrev_b16_e32 v5, 14, v5
	v_mul_lo_u16_e32 v5, 0x41, v5
	v_sub_u16_e32 v18, v27, v5
	v_lshlrev_b32_sdwa v5, v15, v18 dst_sel:DWORD dst_unused:UNUSED_PAD src0_sel:DWORD src1_sel:BYTE_0
	s_movk_i32 s0, 0xfc1
	global_load_dwordx4 v[33:36], v5, s[12:13] offset:416
	global_load_dwordx4 v[37:40], v5, s[12:13] offset:432
	v_mul_u32_u24_sdwa v5, v28, s0 dst_sel:DWORD dst_unused:UNUSED_PAD src0_sel:WORD_0 src1_sel:DWORD
	v_lshrrev_b32_e32 v5, 18, v5
	v_mul_lo_u16_e32 v5, 0x41, v5
	v_sub_u16_e32 v26, v28, v5
	v_mul_u32_u24_sdwa v13, v55, s0 dst_sel:DWORD dst_unused:UNUSED_PAD src0_sel:WORD_0 src1_sel:DWORD
	v_lshlrev_b32_e32 v5, 5, v26
	v_lshrrev_b32_e32 v13, 18, v13
	global_load_dwordx4 v[41:44], v5, s[12:13] offset:416
	global_load_dwordx4 v[45:48], v5, s[12:13] offset:432
	v_mul_lo_u16_e32 v13, 0x41, v13
	v_sub_u16_e32 v56, v55, v13
	v_lshlrev_b32_e32 v13, 5, v56
	ds_read_b32 v5, v0
	global_load_dwordx4 v[49:52], v13, s[12:13] offset:432
	global_load_dwordx4 v[70:73], v13, s[12:13] offset:416
	ds_read2_b32 v[92:93], v57 offset0:69 offset1:134
	ds_read2_b32 v[94:95], v58 offset0:73 offset1:138
	;; [unrolled: 1-line block ×12, first 2 shown]
	v_lshlrev_b32_sdwa v18, v19, v18 dst_sel:DWORD dst_unused:UNUSED_PAD src0_sel:DWORD src1_sel:BYTE_0
	s_waitcnt vmcnt(0) lgkmcnt(0)
	s_barrier
	v_lshlrev_b32_e32 v26, 2, v26
	v_mul_f32_e32 v112, v92, v21
	v_fmac_f32_e32 v112, v24, v20
	v_mul_f32_e32 v24, v24, v21
	v_fma_f32 v24, v92, v20, -v24
	v_mul_f32_e32 v92, v95, v23
	v_fmac_f32_e32 v92, v75, v22
	v_mul_f32_e32 v75, v75, v23
	v_fma_f32 v75, v95, v22, -v75
	;; [unrolled: 4-line block ×4, first 2 shown]
	v_mul_f32_e32 v99, v93, v21
	v_mul_f32_e32 v21, v25, v21
	v_fmac_f32_e32 v99, v25, v20
	v_fma_f32 v20, v93, v20, -v21
	v_mul_f32_e32 v21, v100, v23
	v_mul_f32_e32 v23, v80, v23
	v_fmac_f32_e32 v21, v80, v22
	v_fma_f32 v22, v100, v22, -v23
	;; [unrolled: 4-line block ×12, first 2 shown]
	v_mul_f32_e32 v47, v94, v71
	v_mul_f32_e32 v48, v74, v71
	v_lshlrev_b32_e32 v46, 2, v56
	v_fmac_f32_e32 v47, v74, v70
	v_fma_f32 v48, v94, v70, -v48
	v_mul_f32_e32 v56, v109, v73
	v_mul_f32_e32 v70, v89, v73
	v_fmac_f32_e32 v56, v89, v72
	v_fma_f32 v70, v109, v72, -v70
	v_add_f32_e32 v72, v92, v95
	v_fma_f32 v72, -0.5, v72, v17
	v_mul_f32_e32 v71, v98, v50
	v_sub_f32_e32 v73, v24, v79
	v_mov_b32_e32 v74, v72
	v_fmac_f32_e32 v71, v78, v49
	v_mul_f32_e32 v50, v78, v50
	v_fmac_f32_e32 v74, 0xbf737871, v73
	v_sub_f32_e32 v77, v75, v76
	v_sub_f32_e32 v78, v112, v92
	;; [unrolled: 1-line block ×3, first 2 shown]
	v_fmac_f32_e32 v72, 0x3f737871, v73
	v_fmac_f32_e32 v74, 0xbf167918, v77
	v_add_f32_e32 v78, v78, v80
	v_fmac_f32_e32 v72, 0x3f167918, v77
	v_fma_f32 v49, v98, v49, -v50
	v_mul_f32_e32 v50, v111, v52
	v_mul_f32_e32 v52, v91, v52
	v_fmac_f32_e32 v74, 0x3e9e377a, v78
	v_fmac_f32_e32 v72, 0x3e9e377a, v78
	v_add_f32_e32 v78, v112, v96
	v_fmac_f32_e32 v50, v91, v51
	v_fma_f32 v51, v111, v51, -v52
	v_add_f32_e32 v52, v17, v112
	v_fmac_f32_e32 v17, -0.5, v78
	v_mov_b32_e32 v78, v17
	v_fmac_f32_e32 v78, 0x3f737871, v77
	v_sub_f32_e32 v80, v92, v112
	v_sub_f32_e32 v81, v95, v96
	v_fmac_f32_e32 v17, 0xbf737871, v77
	v_add_f32_e32 v77, v75, v76
	v_fmac_f32_e32 v78, 0xbf167918, v73
	v_add_f32_e32 v80, v80, v81
	v_fmac_f32_e32 v17, 0x3f167918, v73
	v_fma_f32 v77, -0.5, v77, v5
	v_fmac_f32_e32 v78, 0x3e9e377a, v80
	v_fmac_f32_e32 v17, 0x3e9e377a, v80
	v_sub_f32_e32 v80, v112, v96
	v_mov_b32_e32 v81, v77
	v_fmac_f32_e32 v81, 0x3f737871, v80
	v_sub_f32_e32 v82, v92, v95
	v_sub_f32_e32 v83, v24, v75
	v_sub_f32_e32 v84, v79, v76
	v_fmac_f32_e32 v77, 0xbf737871, v80
	v_add_f32_e32 v73, v5, v24
	v_fmac_f32_e32 v81, 0x3f167918, v82
	v_add_f32_e32 v83, v83, v84
	;; [unrolled: 2-line block ×3, first 2 shown]
	v_fmac_f32_e32 v81, 0x3e9e377a, v83
	v_fmac_f32_e32 v77, 0x3e9e377a, v83
	v_add_f32_e32 v83, v24, v79
	v_sub_f32_e32 v24, v75, v24
	v_sub_f32_e32 v75, v76, v79
	v_fmac_f32_e32 v5, -0.5, v83
	v_add_f32_e32 v24, v24, v75
	v_add_f32_e32 v75, v21, v23
	;; [unrolled: 1-line block ×3, first 2 shown]
	v_mov_b32_e32 v83, v5
	v_fma_f32 v75, -0.5, v75, v11
	v_add_f32_e32 v73, v73, v79
	v_fmac_f32_e32 v83, 0xbf737871, v82
	v_fmac_f32_e32 v5, 0x3f737871, v82
	v_sub_f32_e32 v76, v20, v30
	v_mov_b32_e32 v79, v75
	v_fmac_f32_e32 v83, 0x3f167918, v80
	v_fmac_f32_e32 v5, 0xbf167918, v80
	;; [unrolled: 1-line block ×3, first 2 shown]
	v_sub_f32_e32 v80, v22, v25
	v_sub_f32_e32 v82, v99, v21
	;; [unrolled: 1-line block ×3, first 2 shown]
	v_fmac_f32_e32 v75, 0x3f737871, v76
	v_fmac_f32_e32 v79, 0xbf167918, v80
	v_add_f32_e32 v82, v82, v84
	v_fmac_f32_e32 v75, 0x3f167918, v80
	v_fmac_f32_e32 v79, 0x3e9e377a, v82
	;; [unrolled: 1-line block ×3, first 2 shown]
	v_add_f32_e32 v82, v99, v29
	v_fmac_f32_e32 v83, 0x3e9e377a, v24
	v_fmac_f32_e32 v5, 0x3e9e377a, v24
	v_add_f32_e32 v24, v11, v99
	v_fma_f32 v11, -0.5, v82, v11
	v_mov_b32_e32 v82, v11
	v_add_f32_e32 v24, v24, v21
	v_fmac_f32_e32 v82, 0x3f737871, v80
	v_sub_f32_e32 v84, v21, v99
	v_sub_f32_e32 v85, v23, v29
	v_fmac_f32_e32 v11, 0xbf737871, v80
	v_add_f32_e32 v80, v22, v25
	v_add_f32_e32 v24, v24, v23
	v_fmac_f32_e32 v82, 0xbf167918, v76
	v_add_f32_e32 v84, v84, v85
	v_fmac_f32_e32 v11, 0x3f167918, v76
	v_fma_f32 v80, -0.5, v80, v15
	v_add_f32_e32 v24, v24, v29
	v_fmac_f32_e32 v82, 0x3e9e377a, v84
	v_fmac_f32_e32 v11, 0x3e9e377a, v84
	v_sub_f32_e32 v29, v99, v29
	v_mov_b32_e32 v84, v80
	v_fmac_f32_e32 v84, 0x3f737871, v29
	v_sub_f32_e32 v21, v21, v23
	v_sub_f32_e32 v23, v20, v22
	v_sub_f32_e32 v85, v30, v25
	v_fmac_f32_e32 v80, 0xbf737871, v29
	v_fmac_f32_e32 v84, 0x3f167918, v21
	v_add_f32_e32 v23, v23, v85
	v_fmac_f32_e32 v80, 0xbf167918, v21
	v_fmac_f32_e32 v84, 0x3e9e377a, v23
	;; [unrolled: 1-line block ×3, first 2 shown]
	v_add_f32_e32 v23, v20, v30
	v_add_f32_e32 v76, v15, v20
	v_fma_f32 v15, -0.5, v23, v15
	v_mov_b32_e32 v23, v15
	v_fmac_f32_e32 v23, 0xbf737871, v21
	v_fmac_f32_e32 v15, 0x3f737871, v21
	v_add_f32_e32 v21, v32, v34
	v_add_f32_e32 v76, v76, v22
	v_sub_f32_e32 v20, v22, v20
	v_sub_f32_e32 v22, v25, v30
	v_fma_f32 v21, -0.5, v21, v12
	v_add_f32_e32 v76, v76, v25
	v_add_f32_e32 v20, v20, v22
	v_sub_f32_e32 v22, v31, v37
	v_mov_b32_e32 v25, v21
	v_add_f32_e32 v76, v76, v30
	v_fmac_f32_e32 v23, 0x3f167918, v29
	v_fmac_f32_e32 v15, 0xbf167918, v29
	v_fmac_f32_e32 v25, 0xbf737871, v22
	v_sub_f32_e32 v29, v33, v35
	v_sub_f32_e32 v30, v19, v32
	;; [unrolled: 1-line block ×3, first 2 shown]
	v_fmac_f32_e32 v21, 0x3f737871, v22
	v_fmac_f32_e32 v25, 0xbf167918, v29
	v_add_f32_e32 v30, v30, v85
	v_fmac_f32_e32 v21, 0x3f167918, v29
	v_fmac_f32_e32 v25, 0x3e9e377a, v30
	;; [unrolled: 1-line block ×3, first 2 shown]
	v_add_f32_e32 v30, v19, v36
	v_fmac_f32_e32 v23, 0x3e9e377a, v20
	v_fmac_f32_e32 v15, 0x3e9e377a, v20
	v_add_f32_e32 v20, v12, v19
	v_fmac_f32_e32 v12, -0.5, v30
	v_mov_b32_e32 v30, v12
	v_fmac_f32_e32 v30, 0x3f737871, v29
	v_fmac_f32_e32 v12, 0xbf737871, v29
	;; [unrolled: 1-line block ×4, first 2 shown]
	v_add_f32_e32 v22, v16, v31
	v_sub_f32_e32 v85, v32, v19
	v_sub_f32_e32 v86, v34, v36
	v_add_f32_e32 v22, v22, v33
	v_add_f32_e32 v85, v85, v86
	;; [unrolled: 1-line block ×3, first 2 shown]
	v_fmac_f32_e32 v30, 0x3e9e377a, v85
	v_fmac_f32_e32 v12, 0x3e9e377a, v85
	v_add_f32_e32 v85, v22, v37
	v_add_f32_e32 v22, v33, v35
	v_fma_f32 v86, -0.5, v22, v16
	v_sub_f32_e32 v19, v19, v36
	v_mov_b32_e32 v87, v86
	v_add_f32_e32 v20, v20, v32
	v_fmac_f32_e32 v87, 0x3f737871, v19
	v_sub_f32_e32 v22, v32, v34
	v_sub_f32_e32 v29, v31, v33
	;; [unrolled: 1-line block ×3, first 2 shown]
	v_fmac_f32_e32 v86, 0xbf737871, v19
	v_fmac_f32_e32 v87, 0x3f167918, v22
	v_add_f32_e32 v29, v29, v32
	v_fmac_f32_e32 v86, 0xbf167918, v22
	v_fmac_f32_e32 v87, 0x3e9e377a, v29
	;; [unrolled: 1-line block ×3, first 2 shown]
	v_add_f32_e32 v29, v31, v37
	v_fmac_f32_e32 v16, -0.5, v29
	v_mov_b32_e32 v88, v16
	v_fmac_f32_e32 v88, 0xbf737871, v22
	v_sub_f32_e32 v29, v33, v31
	v_sub_f32_e32 v31, v35, v37
	v_fmac_f32_e32 v16, 0x3f737871, v22
	v_add_f32_e32 v22, v40, v42
	v_fmac_f32_e32 v88, 0x3f167918, v19
	v_add_f32_e32 v29, v29, v31
	v_fmac_f32_e32 v16, 0xbf167918, v19
	v_fma_f32 v22, -0.5, v22, v9
	v_fmac_f32_e32 v88, 0x3e9e377a, v29
	v_fmac_f32_e32 v16, 0x3e9e377a, v29
	v_sub_f32_e32 v29, v39, v45
	v_mov_b32_e32 v31, v22
	v_add_f32_e32 v20, v20, v34
	v_fmac_f32_e32 v31, 0xbf737871, v29
	v_sub_f32_e32 v32, v41, v43
	v_sub_f32_e32 v33, v38, v40
	;; [unrolled: 1-line block ×3, first 2 shown]
	v_fmac_f32_e32 v22, 0x3f737871, v29
	v_fmac_f32_e32 v31, 0xbf167918, v32
	v_add_f32_e32 v33, v33, v34
	v_fmac_f32_e32 v22, 0x3f167918, v32
	v_fmac_f32_e32 v31, 0x3e9e377a, v33
	v_fmac_f32_e32 v22, 0x3e9e377a, v33
	v_add_f32_e32 v33, v38, v44
	v_add_f32_e32 v19, v9, v38
	v_fma_f32 v9, -0.5, v33, v9
	v_mov_b32_e32 v33, v9
	v_fmac_f32_e32 v33, 0x3f737871, v32
	v_fmac_f32_e32 v9, 0xbf737871, v32
	;; [unrolled: 1-line block ×4, first 2 shown]
	v_add_f32_e32 v29, v13, v39
	v_add_f32_e32 v29, v29, v41
	;; [unrolled: 1-line block ×5, first 2 shown]
	v_sub_f32_e32 v34, v40, v38
	v_sub_f32_e32 v35, v42, v44
	v_fma_f32 v90, -0.5, v29, v13
	v_add_f32_e32 v34, v34, v35
	v_sub_f32_e32 v29, v38, v44
	v_mov_b32_e32 v91, v90
	v_fmac_f32_e32 v33, 0x3e9e377a, v34
	v_fmac_f32_e32 v9, 0x3e9e377a, v34
	;; [unrolled: 1-line block ×3, first 2 shown]
	v_sub_f32_e32 v32, v40, v42
	v_sub_f32_e32 v34, v39, v41
	;; [unrolled: 1-line block ×3, first 2 shown]
	v_fmac_f32_e32 v90, 0xbf737871, v29
	v_fmac_f32_e32 v91, 0x3f167918, v32
	v_add_f32_e32 v34, v34, v35
	v_fmac_f32_e32 v90, 0xbf167918, v32
	v_fmac_f32_e32 v91, 0x3e9e377a, v34
	;; [unrolled: 1-line block ×3, first 2 shown]
	v_add_f32_e32 v34, v39, v45
	v_add_f32_e32 v19, v19, v40
	v_fma_f32 v13, -0.5, v34, v13
	v_add_f32_e32 v19, v19, v42
	v_mov_b32_e32 v42, v13
	v_fmac_f32_e32 v42, 0xbf737871, v32
	v_sub_f32_e32 v34, v41, v39
	v_sub_f32_e32 v35, v43, v45
	v_fmac_f32_e32 v13, 0x3f737871, v32
	v_add_f32_e32 v32, v56, v71
	v_fmac_f32_e32 v42, 0x3f167918, v29
	v_add_f32_e32 v34, v34, v35
	v_fmac_f32_e32 v13, 0xbf167918, v29
	v_fma_f32 v32, -0.5, v32, v10
	v_fmac_f32_e32 v42, 0x3e9e377a, v34
	v_fmac_f32_e32 v13, 0x3e9e377a, v34
	v_sub_f32_e32 v34, v48, v51
	v_mov_b32_e32 v35, v32
	v_add_f32_e32 v20, v20, v36
	v_fmac_f32_e32 v35, 0xbf737871, v34
	v_sub_f32_e32 v36, v70, v49
	v_sub_f32_e32 v37, v47, v56
	;; [unrolled: 1-line block ×3, first 2 shown]
	v_fmac_f32_e32 v32, 0x3f737871, v34
	v_fmac_f32_e32 v35, 0xbf167918, v36
	v_add_f32_e32 v37, v37, v38
	v_fmac_f32_e32 v32, 0x3f167918, v36
	v_fmac_f32_e32 v35, 0x3e9e377a, v37
	;; [unrolled: 1-line block ×3, first 2 shown]
	v_add_f32_e32 v37, v47, v50
	v_add_f32_e32 v29, v10, v47
	v_fmac_f32_e32 v10, -0.5, v37
	v_mov_b32_e32 v37, v10
	v_fmac_f32_e32 v37, 0x3f737871, v36
	v_fmac_f32_e32 v10, 0xbf737871, v36
	;; [unrolled: 1-line block ×4, first 2 shown]
	v_add_f32_e32 v34, v14, v48
	v_add_f32_e32 v34, v34, v70
	;; [unrolled: 1-line block ×7, first 2 shown]
	v_sub_f32_e32 v38, v56, v47
	v_sub_f32_e32 v39, v71, v50
	v_fma_f32 v45, -0.5, v34, v14
	v_add_f32_e32 v52, v52, v96
	v_add_f32_e32 v38, v38, v39
	v_sub_f32_e32 v34, v47, v50
	v_mov_b32_e32 v92, v45
	v_fmac_f32_e32 v37, 0x3e9e377a, v38
	v_fmac_f32_e32 v10, 0x3e9e377a, v38
	;; [unrolled: 1-line block ×3, first 2 shown]
	v_sub_f32_e32 v36, v56, v71
	v_sub_f32_e32 v38, v48, v70
	v_sub_f32_e32 v39, v51, v49
	v_fmac_f32_e32 v45, 0xbf737871, v34
	ds_write2_b32 v53, v52, v74 offset1:65
	ds_write2_b32 v53, v78, v17 offset0:130 offset1:195
	ds_write2_b32 v57, v72, v24 offset0:4 offset1:69
	;; [unrolled: 1-line block ×4, first 2 shown]
	v_add3_u32 v11, 0, v18, v62
	v_fmac_f32_e32 v92, 0x3f167918, v36
	v_add_f32_e32 v38, v38, v39
	v_fmac_f32_e32 v45, 0xbf167918, v36
	v_add_u32_e32 v24, 0x800, v11
	v_fmac_f32_e32 v92, 0x3e9e377a, v38
	v_fmac_f32_e32 v45, 0x3e9e377a, v38
	v_add_f32_e32 v38, v48, v51
	ds_write2_b32 v24, v20, v25 offset0:138 offset1:203
	v_add_u32_e32 v25, 0xc00, v11
	v_add_f32_e32 v29, v29, v56
	v_fmac_f32_e32 v14, -0.5, v38
	ds_write2_b32 v25, v30, v12 offset0:12 offset1:77
	ds_write_b32 v11, v21 offset:3640
	v_add3_u32 v12, 0, v26, v62
	v_add_f32_e32 v19, v19, v44
	v_add_f32_e32 v29, v29, v71
	v_mov_b32_e32 v71, v14
	v_sub_f32_e32 v39, v49, v51
	v_add_u32_e32 v26, 0xe00, v12
	v_add_u32_e32 v51, 0x1000, v12
	v_fmac_f32_e32 v71, 0xbf737871, v36
	v_sub_f32_e32 v38, v70, v48
	v_fmac_f32_e32 v14, 0x3f737871, v36
	ds_write2_b32 v26, v19, v31 offset0:79 offset1:144
	ds_write2_b32 v51, v33, v9 offset0:81 offset1:146
	ds_write_b32 v12, v22 offset:4940
	v_add3_u32 v9, 0, v46, v62
	v_add_f32_e32 v29, v29, v50
	v_fmac_f32_e32 v71, 0x3f167918, v34
	v_add_f32_e32 v38, v38, v39
	v_fmac_f32_e32 v14, 0xbf167918, v34
	v_add_u32_e32 v46, 0x1400, v9
	v_fmac_f32_e32 v71, 0x3e9e377a, v38
	v_fmac_f32_e32 v14, 0x3e9e377a, v38
	ds_write2_b32 v46, v29, v35 offset0:20 offset1:85
	ds_write2_b32 v46, v37, v10 offset0:150 offset1:215
	ds_write_b32 v9, v32 offset:6240
	s_waitcnt lgkmcnt(0)
	s_barrier
	ds_read_b32 v56, v0
	ds_read2_b32 v[33:34], v57 offset0:69 offset1:134
	ds_read2_b32 v[31:32], v58 offset0:73 offset1:138
	;; [unrolled: 1-line block ×12, first 2 shown]
	s_waitcnt lgkmcnt(0)
	s_barrier
	ds_write2_b32 v53, v73, v81 offset1:65
	ds_write2_b32 v53, v83, v5 offset0:130 offset1:195
	ds_write2_b32 v57, v77, v76 offset0:4 offset1:69
	;; [unrolled: 1-line block ×6, first 2 shown]
	ds_write_b32 v11, v86 offset:3640
	ds_write2_b32 v26, v89, v91 offset0:79 offset1:144
	ds_write2_b32 v51, v42, v13 offset0:81 offset1:146
	ds_write_b32 v12, v90 offset:4940
	ds_write2_b32 v46, v41, v92 offset0:20 offset1:85
	ds_write2_b32 v46, v71, v14 offset0:150 offset1:215
	ds_write_b32 v9, v45 offset:6240
	s_waitcnt lgkmcnt(0)
	s_barrier
	s_and_saveexec_b64 s[0:1], vcc
	s_cbranch_execz .LBB0_21
; %bb.20:
	v_lshlrev_b32_e32 v5, 2, v55
	v_lshlrev_b64 v[9:10], 3, v[5:6]
	v_mov_b32_e32 v51, s13
	v_add_co_u32_e32 v23, vcc, s12, v9
	v_addc_co_u32_e32 v24, vcc, v51, v10, vcc
	global_load_dwordx4 v[9:12], v[23:24], off offset:2496
	global_load_dwordx4 v[13:16], v[23:24], off offset:2512
	v_mul_lo_u32 v52, s5, v3
	v_mad_u64_u32 v[25:26], s[0:1], s4, v3, 0
	v_add_u32_e32 v3, 0xc00, v53
	v_add_u32_e32 v5, 0x1200, v53
	;; [unrolled: 1-line block ×3, first 2 shown]
	v_mul_lo_u32 v55, s4, v4
	v_add_u32_e32 v4, 0x800, v53
	v_add_u32_e32 v60, 0x200, v53
	ds_read2_b32 v[23:24], v3 offset0:77 offset1:142
	ds_read2_b32 v[41:42], v4 offset0:73 offset1:138
	ds_read2_b32 v[45:46], v5 offset0:83 offset1:148
	ds_read2_b32 v[57:58], v57 offset0:87 offset1:152
	ds_read2_b32 v[76:77], v60 offset0:67 offset1:132
	v_lshlrev_b32_e32 v5, 2, v28
	v_lshlrev_b64 v[3:4], 3, v[5:6]
	v_add3_u32 v26, v26, v55, v52
	v_add_co_u32_e32 v3, vcc, s12, v3
	v_addc_co_u32_e32 v4, vcc, v51, v4, vcc
	global_load_dwordx4 v[60:63], v[3:4], off offset:2512
	global_load_dwordx4 v[64:67], v[3:4], off offset:2496
	s_mov_b32 s0, 0xc9a633fd
	v_lshlrev_b64 v[25:26], 3, v[25:26]
	s_movk_i32 s1, 0x659
	s_waitcnt vmcnt(3)
	v_mul_f32_e32 v4, v31, v10
	v_mul_f32_e32 v3, v20, v12
	s_waitcnt vmcnt(2)
	v_mul_f32_e32 v5, v35, v14
	v_mul_f32_e32 v28, v22, v16
	s_waitcnt lgkmcnt(3)
	v_fma_f32 v4, v41, v9, -v4
	v_mul_f32_e32 v52, v24, v12
	v_mul_f32_e32 v68, v41, v10
	s_waitcnt lgkmcnt(1)
	v_mul_f32_e32 v79, v58, v16
	v_fma_f32 v3, v24, v11, -v3
	v_fma_f32 v5, v45, v13, -v5
	;; [unrolled: 1-line block ×3, first 2 shown]
	s_waitcnt lgkmcnt(0)
	v_add_f32_e32 v24, v4, v77
	v_mul_f32_e32 v55, v45, v14
	v_fmac_f32_e32 v52, v20, v11
	v_fmac_f32_e32 v68, v31, v9
	;; [unrolled: 1-line block ×3, first 2 shown]
	v_sub_f32_e32 v9, v3, v4
	v_sub_f32_e32 v14, v4, v3
	v_sub_f32_e32 v20, v16, v5
	v_add_f32_e32 v22, v3, v5
	v_sub_f32_e32 v41, v3, v5
	v_add_f32_e32 v3, v3, v24
	v_fmac_f32_e32 v55, v35, v13
	v_add_f32_e32 v11, v4, v16
	v_sub_f32_e32 v35, v4, v16
	v_add_f32_e32 v4, v68, v79
	v_add_f32_e32 v20, v14, v20
	v_fma_f32 v14, -0.5, v22, v77
	v_add_f32_e32 v3, v5, v3
	v_sub_f32_e32 v10, v5, v16
	v_sub_f32_e32 v15, v68, v79
	v_fma_f32 v12, -0.5, v11, v77
	v_fma_f32 v11, -0.5, v4, v38
	v_mov_b32_e32 v4, v14
	v_add_f32_e32 v16, v16, v3
	v_sub_f32_e32 v3, v68, v52
	v_sub_f32_e32 v5, v79, v55
	;; [unrolled: 1-line block ×3, first 2 shown]
	v_add_f32_e32 v45, v9, v10
	v_mov_b32_e32 v10, v12
	v_fmac_f32_e32 v14, 0x3f737871, v15
	v_fmac_f32_e32 v4, 0xbf737871, v15
	v_add_f32_e32 v5, v3, v5
	v_add_f32_e32 v3, v52, v55
	v_fmac_f32_e32 v12, 0xbf737871, v13
	v_fmac_f32_e32 v10, 0x3f737871, v13
	;; [unrolled: 1-line block ×4, first 2 shown]
	v_fma_f32 v13, -0.5, v3, v38
	v_mov_b32_e32 v3, v13
	v_fmac_f32_e32 v3, 0x3f737871, v35
	v_fmac_f32_e32 v13, 0xbf737871, v35
	;; [unrolled: 1-line block ×6, first 2 shown]
	v_add_f32_e32 v5, v38, v68
	v_add_f32_e32 v5, v52, v5
	v_fmac_f32_e32 v12, 0x3f167918, v15
	v_fmac_f32_e32 v10, 0xbf167918, v15
	v_add_f32_e32 v15, v5, v55
	v_add_u32_e32 v5, 0x600, v53
	v_sub_f32_e32 v28, v52, v68
	v_sub_f32_e32 v31, v55, v79
	ds_read2_b32 v[77:78], v5 offset0:71 offset1:136
	v_lshlrev_b32_e32 v5, 2, v27
	v_add_f32_e32 v22, v28, v31
	v_lshlrev_b64 v[27:28], 3, v[5:6]
	v_fmac_f32_e32 v14, 0x3e9e377a, v20
	v_add_co_u32_e32 v27, vcc, s12, v27
	v_addc_co_u32_e32 v28, vcc, v51, v28, vcc
	global_load_dwordx4 v[68:71], v[27:28], off offset:2512
	global_load_dwordx4 v[72:75], v[27:28], off offset:2496
	v_fmac_f32_e32 v4, 0x3e9e377a, v20
	s_waitcnt vmcnt(2)
	v_mul_f32_e32 v20, v19, v67
	v_fma_f32 v31, v23, v66, -v20
	v_add_u32_e32 v20, 0x1000, v53
	v_add_f32_e32 v15, v15, v79
	ds_read2_b32 v[79:80], v20 offset0:81 offset1:146
	v_mov_b32_e32 v9, v11
	v_fmac_f32_e32 v11, 0x3f737871, v41
	v_fmac_f32_e32 v9, 0xbf737871, v41
	v_fmac_f32_e32 v11, 0xbf167918, v35
	v_fmac_f32_e32 v9, 0x3f167918, v35
	v_fmac_f32_e32 v12, 0x3e9e377a, v45
	v_fmac_f32_e32 v11, 0x3e9e377a, v22
	v_fmac_f32_e32 v10, 0x3e9e377a, v45
	v_fmac_f32_e32 v9, 0x3e9e377a, v22
	v_mul_f32_e32 v22, v21, v63
	s_waitcnt lgkmcnt(1)
	v_mul_f32_e32 v45, v78, v65
	v_mul_f32_e32 v5, v50, v65
	v_fma_f32 v35, v57, v62, -v22
	v_mul_f32_e32 v22, v48, v61
	v_fmac_f32_e32 v45, v50, v64
	v_mul_f32_e32 v50, v57, v63
	v_mul_f32_e32 v55, v23, v67
	s_waitcnt lgkmcnt(0)
	v_mul_f32_e32 v57, v80, v61
	v_fma_f32 v5, v78, v64, -v5
	v_fma_f32 v38, v80, v60, -v22
	v_fmac_f32_e32 v50, v21, v62
	v_fmac_f32_e32 v55, v19, v66
	v_fmac_f32_e32 v57, v48, v60
	v_sub_f32_e32 v20, v5, v31
	v_sub_f32_e32 v22, v35, v38
	;; [unrolled: 1-line block ×4, first 2 shown]
	v_add_f32_e32 v41, v20, v22
	v_add_f32_e32 v58, v19, v21
	v_sub_f32_e32 v21, v31, v5
	v_sub_f32_e32 v22, v38, v35
	;; [unrolled: 1-line block ×3, first 2 shown]
	v_add_f32_e32 v62, v21, v22
	v_add_f32_e32 v21, v5, v35
	;; [unrolled: 1-line block ×7, first 2 shown]
	v_sub_f32_e32 v61, v31, v38
	v_add_f32_e32 v38, v35, v5
	v_add_f32_e32 v5, v37, v45
	v_fma_f32 v23, -0.5, v19, v37
	v_fma_f32 v28, -0.5, v21, v76
	v_sub_f32_e32 v21, v55, v45
	v_sub_f32_e32 v27, v57, v50
	v_add_f32_e32 v5, v5, v55
	v_mov_b32_e32 v19, v23
	v_add_f32_e32 v63, v21, v27
	v_add_f32_e32 v21, v45, v50
	;; [unrolled: 1-line block ×3, first 2 shown]
	v_fmac_f32_e32 v19, 0x3f737871, v60
	v_fma_f32 v27, -0.5, v21, v37
	v_fmac_f32_e32 v23, 0xbf737871, v60
	v_add_f32_e32 v37, v50, v5
	v_fmac_f32_e32 v19, 0x3f167918, v61
	v_fmac_f32_e32 v23, 0xbf167918, v61
	v_sub_f32_e32 v48, v55, v57
	v_fmac_f32_e32 v19, 0x3e9e377a, v58
	v_fmac_f32_e32 v23, 0x3e9e377a, v58
	v_mov_b32_e32 v22, v28
	v_mov_b32_e32 v21, v27
	v_sub_f32_e32 v52, v45, v50
	v_fmac_f32_e32 v22, 0x3f737871, v48
	v_fmac_f32_e32 v21, 0xbf737871, v61
	;; [unrolled: 1-line block ×10, first 2 shown]
	s_waitcnt vmcnt(0)
	v_mul_f32_e32 v5, v49, v73
	v_fma_f32 v31, v77, v72, -v5
	v_add_u32_e32 v5, 0xa00, v53
	ds_read2_b32 v[57:58], v5 offset0:75 offset1:140
	v_add_u32_e32 v5, 0x1400, v53
	ds_read2_b32 v[80:81], v5 offset0:85 offset1:150
	v_lshlrev_b32_e32 v5, 2, v54
	v_lshlrev_b64 v[5:6], 3, v[5:6]
	v_fmac_f32_e32 v28, 0x3e9e377a, v62
	v_add_co_u32_e32 v5, vcc, s12, v5
	v_addc_co_u32_e32 v6, vcc, v51, v6, vcc
	v_fmac_f32_e32 v27, 0x3e9e377a, v63
	global_load_dwordx4 v[60:63], v[5:6], off offset:2512
	global_load_dwordx4 v[64:67], v[5:6], off offset:2496
	v_fma_f32 v24, -0.5, v20, v76
	v_mov_b32_e32 v20, v24
	v_fmac_f32_e32 v20, 0xbf737871, v52
	v_fmac_f32_e32 v24, 0x3f737871, v52
	v_mul_f32_e32 v6, v40, v71
	ds_read2_b32 v[51:52], v53 offset0:65 offset1:130
	v_mul_f32_e32 v5, v44, v75
	s_waitcnt lgkmcnt(1)
	v_fma_f32 v50, v81, v70, -v6
	v_mul_f32_e32 v6, v47, v69
	v_fma_f32 v35, v58, v74, -v5
	v_fma_f32 v54, v79, v68, -v6
	v_mul_f32_e32 v73, v77, v73
	v_sub_f32_e32 v5, v31, v35
	v_sub_f32_e32 v6, v50, v54
	v_fmac_f32_e32 v73, v49, v72
	v_mul_f32_e32 v49, v81, v71
	v_mul_f32_e32 v58, v58, v75
	;; [unrolled: 1-line block ×3, first 2 shown]
	v_add_f32_e32 v55, v5, v6
	v_add_f32_e32 v5, v35, v54
	v_fmac_f32_e32 v49, v40, v70
	v_fmac_f32_e32 v58, v44, v74
	;; [unrolled: 1-line block ×5, first 2 shown]
	s_waitcnt lgkmcnt(0)
	v_fma_f32 v45, -0.5, v5, v52
	v_sub_f32_e32 v5, v73, v58
	v_sub_f32_e32 v40, v49, v69
	v_fmac_f32_e32 v20, 0x3e9e377a, v41
	v_fmac_f32_e32 v24, 0x3e9e377a, v41
	v_add_f32_e32 v71, v5, v40
	v_sub_f32_e32 v40, v35, v31
	v_sub_f32_e32 v41, v54, v50
	v_add_f32_e32 v75, v40, v41
	v_add_f32_e32 v40, v31, v50
	;; [unrolled: 1-line block ×3, first 2 shown]
	v_fma_f32 v48, -0.5, v40, v52
	v_sub_f32_e32 v40, v58, v73
	v_sub_f32_e32 v47, v69, v49
	v_fma_f32 v44, -0.5, v5, v18
	v_sub_f32_e32 v72, v31, v50
	v_add_f32_e32 v76, v40, v47
	v_add_f32_e32 v40, v73, v49
	;; [unrolled: 1-line block ×3, first 2 shown]
	v_sub_f32_e32 v70, v73, v49
	v_mov_b32_e32 v6, v45
	v_sub_f32_e32 v68, v58, v69
	v_mov_b32_e32 v5, v44
	v_mov_b32_e32 v41, v48
	v_fma_f32 v47, -0.5, v40, v18
	v_add_f32_e32 v31, v35, v31
	v_fmac_f32_e32 v6, 0xbf737871, v70
	v_fmac_f32_e32 v5, 0x3f737871, v72
	v_sub_f32_e32 v74, v35, v54
	v_fmac_f32_e32 v41, 0x3f737871, v68
	v_mov_b32_e32 v40, v47
	v_fmac_f32_e32 v48, 0xbf737871, v68
	v_fmac_f32_e32 v45, 0x3f737871, v70
	v_add_f32_e32 v31, v54, v31
	v_fmac_f32_e32 v44, 0xbf737871, v72
	v_add_f32_e32 v18, v18, v73
	v_fmac_f32_e32 v6, 0xbf167918, v68
	v_fmac_f32_e32 v5, 0x3f167918, v74
	;; [unrolled: 1-line block ×6, first 2 shown]
	v_add_f32_e32 v50, v50, v31
	v_fmac_f32_e32 v47, 0x3f737871, v74
	v_fmac_f32_e32 v44, 0xbf167918, v74
	v_add_f32_e32 v18, v18, v58
	v_add_u32_e32 v31, 0x400, v53
	v_fmac_f32_e32 v6, 0x3e9e377a, v55
	v_fmac_f32_e32 v5, 0x3e9e377a, v71
	v_fmac_f32_e32 v41, 0x3e9e377a, v75
	v_fmac_f32_e32 v40, 0x3f167918, v72
	v_fmac_f32_e32 v48, 0x3e9e377a, v75
	v_fmac_f32_e32 v45, 0x3e9e377a, v55
	v_fmac_f32_e32 v47, 0xbf167918, v72
	v_fmac_f32_e32 v44, 0x3e9e377a, v71
	v_add_f32_e32 v18, v18, v69
	ds_read2_b32 v[54:55], v31 offset0:69 offset1:134
	global_load_dwordx4 v[68:71], v[7:8], off offset:2512
	global_load_dwordx4 v[72:75], v[7:8], off offset:2496
	s_waitcnt vmcnt(2)
	v_mul_f32_e32 v7, v34, v65
	v_add_f32_e32 v49, v49, v18
	v_mul_f32_e32 v35, v39, v63
	s_waitcnt lgkmcnt(0)
	v_fma_f32 v18, v55, v64, -v7
	v_mul_f32_e32 v7, v43, v67
	v_fma_f32 v58, v57, v66, -v7
	v_add_u32_e32 v7, 0xe00, v53
	ds_read2_b32 v[7:8], v7 offset0:79 offset1:144
	v_fmac_f32_e32 v40, 0x3e9e377a, v76
	v_fmac_f32_e32 v47, 0x3e9e377a, v76
	v_fma_f32 v76, v80, v62, -v35
	v_mul_f32_e32 v35, v30, v61
	v_add_f32_e32 v52, v18, v51
	s_waitcnt lgkmcnt(0)
	v_fma_f32 v77, v8, v60, -v35
	v_mul_f32_e32 v8, v8, v61
	v_mul_f32_e32 v55, v55, v65
	v_add_f32_e32 v52, v58, v52
	v_mul_f32_e32 v57, v57, v67
	v_fmac_f32_e32 v8, v30, v60
	v_fmac_f32_e32 v55, v34, v64
	v_mul_f32_e32 v60, v80, v63
	v_add_f32_e32 v52, v77, v52
	v_sub_f32_e32 v31, v18, v58
	v_sub_f32_e32 v35, v76, v77
	v_fmac_f32_e32 v57, v43, v66
	v_fmac_f32_e32 v60, v39, v62
	v_add_f32_e32 v30, v58, v77
	v_add_f32_e32 v53, v76, v52
	;; [unrolled: 1-line block ×4, first 2 shown]
	v_fma_f32 v31, -0.5, v30, v51
	v_sub_f32_e32 v30, v55, v57
	v_sub_f32_e32 v34, v60, v8
	;; [unrolled: 1-line block ×4, first 2 shown]
	v_add_f32_e32 v52, v52, v57
	v_sub_f32_e32 v58, v58, v18
	v_add_f32_e32 v18, v18, v76
	v_sub_f32_e32 v43, v57, v8
	v_add_f32_e32 v61, v30, v34
	v_add_f32_e32 v30, v57, v8
	;; [unrolled: 1-line block ×3, first 2 shown]
	v_fmac_f32_e32 v51, -0.5, v18
	v_sub_f32_e32 v18, v57, v55
	v_sub_f32_e32 v8, v8, v60
	v_add_f32_e32 v8, v18, v8
	v_add_f32_e32 v18, v55, v60
	v_fma_f32 v30, -0.5, v30, v17
	v_fmac_f32_e32 v17, -0.5, v18
	v_mov_b32_e32 v57, v17
	v_sub_f32_e32 v39, v55, v60
	v_mov_b32_e32 v35, v31
	v_sub_f32_e32 v64, v77, v76
	v_fmac_f32_e32 v57, 0xbf737871, v63
	v_fmac_f32_e32 v17, 0x3f737871, v63
	;; [unrolled: 1-line block ×3, first 2 shown]
	v_add_f32_e32 v64, v58, v64
	v_mov_b32_e32 v58, v51
	v_fmac_f32_e32 v31, 0xbf737871, v39
	v_fmac_f32_e32 v57, 0x3f167918, v62
	;; [unrolled: 1-line block ×4, first 2 shown]
	v_mov_b32_e32 v34, v30
	v_fmac_f32_e32 v58, 0x3f737871, v43
	v_fmac_f32_e32 v51, 0xbf737871, v43
	;; [unrolled: 1-line block ×5, first 2 shown]
	ds_read_b32 v0, v0
	v_fmac_f32_e32 v34, 0xbf737871, v62
	v_fmac_f32_e32 v30, 0x3f737871, v62
	;; [unrolled: 1-line block ×6, first 2 shown]
	v_add_f32_e32 v52, v60, v52
	v_fmac_f32_e32 v58, 0x3e9e377a, v64
	v_fmac_f32_e32 v51, 0x3e9e377a, v64
	s_waitcnt vmcnt(1)
	v_mul_f32_e32 v43, v36, v71
	s_waitcnt vmcnt(0)
	v_mul_f32_e32 v8, v33, v73
	v_fma_f32 v18, v54, v72, -v8
	v_mul_f32_e32 v8, v32, v75
	v_fma_f32 v62, v46, v70, -v43
	;; [unrolled: 2-line block ×3, first 2 shown]
	v_fma_f32 v63, v7, v68, -v43
	v_sub_f32_e32 v8, v18, v39
	v_sub_f32_e32 v43, v62, v63
	v_add_f32_e32 v60, v8, v43
	v_add_f32_e32 v8, v39, v63
	v_mul_f32_e32 v64, v54, v73
	v_mul_f32_e32 v46, v46, v71
	v_mul_f32_e32 v65, v42, v75
	v_sub_f32_e32 v42, v39, v18
	v_sub_f32_e32 v43, v63, v62
	s_waitcnt lgkmcnt(0)
	v_fma_f32 v8, -0.5, v8, v0
	v_fmac_f32_e32 v64, v33, v72
	v_fmac_f32_e32 v46, v36, v70
	v_mul_f32_e32 v66, v7, v69
	v_add_f32_e32 v69, v42, v43
	v_add_f32_e32 v42, v18, v62
	v_sub_f32_e32 v36, v64, v46
	v_mov_b32_e32 v33, v8
	v_fmac_f32_e32 v65, v32, v74
	v_fmac_f32_e32 v66, v29, v68
	v_fma_f32 v43, -0.5, v42, v0
	v_fmac_f32_e32 v33, 0xbf737871, v36
	v_sub_f32_e32 v29, v65, v66
	v_mov_b32_e32 v55, v43
	v_fmac_f32_e32 v8, 0x3f737871, v36
	v_fmac_f32_e32 v33, 0xbf167918, v29
	;; [unrolled: 1-line block ×5, first 2 shown]
	v_mul_hi_u32 v29, v59, s0
	v_sub_f32_e32 v7, v64, v65
	v_sub_f32_e32 v32, v46, v66
	v_fmac_f32_e32 v34, 0x3e9e377a, v61
	v_fmac_f32_e32 v30, 0x3e9e377a, v61
	v_add_f32_e32 v61, v7, v32
	v_add_f32_e32 v7, v65, v66
	v_fma_f32 v7, -0.5, v7, v56
	v_sub_f32_e32 v67, v18, v62
	v_mov_b32_e32 v32, v7
	v_add_f32_e32 v0, v18, v0
	v_lshrrev_b32_e32 v18, 8, v29
	v_fmac_f32_e32 v32, 0x3f737871, v67
	v_sub_f32_e32 v68, v39, v63
	v_fmac_f32_e32 v7, 0xbf737871, v67
	v_mul_u32_u24_e32 v18, 0x145, v18
	v_fmac_f32_e32 v32, 0x3f167918, v68
	v_fmac_f32_e32 v7, 0xbf167918, v68
	v_sub_u32_e32 v18, v59, v18
	v_fmac_f32_e32 v33, 0x3e9e377a, v60
	v_fmac_f32_e32 v32, 0x3e9e377a, v61
	;; [unrolled: 1-line block ×4, first 2 shown]
	v_mad_u64_u32 v[60:61], s[4:5], s2, v18, 0
	v_add_f32_e32 v0, v39, v0
	v_add_f32_e32 v0, v63, v0
	v_add_f32_e32 v63, v62, v0
	v_add_f32_e32 v29, v56, v64
	v_mov_b32_e32 v0, v61
	v_mad_u64_u32 v[61:62], s[4:5], s3, v18, v[0:1]
	v_add_f32_e32 v0, v29, v65
	v_add_f32_e32 v0, v0, v66
	;; [unrolled: 1-line block ×3, first 2 shown]
	v_mov_b32_e32 v0, s11
	v_add_co_u32_e32 v29, vcc, s10, v25
	v_add_u32_e32 v39, 0x145, v18
	v_fmac_f32_e32 v55, 0xbf167918, v36
	v_fmac_f32_e32 v43, 0x3f167918, v36
	v_addc_co_u32_e32 v36, vcc, v0, v26, vcc
	v_mad_u64_u32 v[25:26], s[4:5], s2, v39, 0
	v_lshlrev_b64 v[0:1], 3, v[1:2]
	v_sub_f32_e32 v42, v65, v64
	v_add_co_u32_e32 v29, vcc, v29, v0
	v_mov_b32_e32 v2, v26
	v_addc_co_u32_e32 v36, vcc, v36, v1, vcc
	v_lshlrev_b64 v[0:1], 3, v[60:61]
	v_mad_u64_u32 v[60:61], s[4:5], s3, v39, v[2:3]
	v_add_co_u32_e32 v0, vcc, v29, v0
	v_addc_co_u32_e32 v1, vcc, v36, v1, vcc
	v_mov_b32_e32 v26, v60
	v_add_u32_e32 v39, 0x28a, v18
	global_store_dwordx2 v[0:1], v[62:63], off
	v_lshlrev_b64 v[0:1], 3, v[25:26]
	v_mad_u64_u32 v[25:26], s[4:5], s2, v39, 0
	v_add_co_u32_e32 v0, vcc, v29, v0
	v_mov_b32_e32 v2, v26
	v_mad_u64_u32 v[60:61], s[4:5], s3, v39, v[2:3]
	v_add_u32_e32 v39, 0x3cf, v18
	v_mad_u64_u32 v[61:62], s[4:5], s2, v39, 0
	v_addc_co_u32_e32 v1, vcc, v36, v1, vcc
	v_mov_b32_e32 v2, v62
	global_store_dwordx2 v[0:1], v[7:8], off
	v_mad_u64_u32 v[7:8], s[4:5], s3, v39, v[2:3]
	v_add_u32_e32 v18, 0x514, v18
	v_sub_f32_e32 v54, v66, v46
	v_mov_b32_e32 v62, v7
	v_mad_u64_u32 v[7:8], s[4:5], s2, v18, 0
	v_add_f32_e32 v70, v42, v54
	v_add_f32_e32 v42, v64, v46
	v_mov_b32_e32 v26, v60
	v_fma_f32 v42, -0.5, v42, v56
	v_lshlrev_b64 v[0:1], 3, v[25:26]
	v_mov_b32_e32 v54, v42
	v_fmac_f32_e32 v42, 0x3f737871, v68
	v_fmac_f32_e32 v42, 0xbf167918, v67
	v_add_co_u32_e32 v0, vcc, v29, v0
	v_mov_b32_e32 v2, v8
	v_fmac_f32_e32 v43, 0x3e9e377a, v69
	v_fmac_f32_e32 v42, 0x3e9e377a, v70
	v_addc_co_u32_e32 v1, vcc, v36, v1, vcc
	v_mad_u64_u32 v[25:26], s[4:5], s3, v18, v[2:3]
	v_add_u32_e32 v2, 0x41, v59
	global_store_dwordx2 v[0:1], v[42:43], off
	v_lshlrev_b64 v[0:1], 3, v[61:62]
	v_mul_hi_u32 v18, v2, s0
	v_fmac_f32_e32 v54, 0xbf737871, v68
	v_fmac_f32_e32 v54, 0x3f167918, v67
	v_add_co_u32_e32 v0, vcc, v29, v0
	v_fmac_f32_e32 v55, 0x3e9e377a, v69
	v_fmac_f32_e32 v54, 0x3e9e377a, v70
	v_addc_co_u32_e32 v1, vcc, v36, v1, vcc
	v_mov_b32_e32 v8, v25
	global_store_dwordx2 v[0:1], v[54:55], off
	v_lshlrev_b64 v[0:1], 3, v[7:8]
	v_lshrrev_b32_e32 v7, 8, v18
	v_mul_u32_u24_e32 v8, 0x145, v7
	v_sub_u32_e32 v2, v2, v8
	v_mad_u32_u24 v39, v7, s1, v2
	v_mad_u64_u32 v[7:8], s[4:5], s2, v39, 0
	v_add_u32_e32 v18, 0x145, v39
	v_mad_u64_u32 v[42:43], s[4:5], s2, v18, 0
	v_mov_b32_e32 v2, v8
	v_mad_u64_u32 v[25:26], s[4:5], s3, v39, v[2:3]
	v_add_co_u32_e32 v0, vcc, v29, v0
	v_addc_co_u32_e32 v1, vcc, v36, v1, vcc
	v_mov_b32_e32 v8, v25
	v_mov_b32_e32 v2, v43
	global_store_dwordx2 v[0:1], v[32:33], off
	v_lshlrev_b64 v[0:1], 3, v[7:8]
	v_mad_u64_u32 v[7:8], s[4:5], s3, v18, v[2:3]
	v_add_u32_e32 v18, 0x28a, v39
	v_add_co_u32_e32 v0, vcc, v29, v0
	v_mov_b32_e32 v43, v7
	v_mad_u64_u32 v[7:8], s[4:5], s2, v18, 0
	v_addc_co_u32_e32 v1, vcc, v36, v1, vcc
	v_mov_b32_e32 v2, v8
	v_mad_u64_u32 v[25:26], s[4:5], s3, v18, v[2:3]
	v_add_u32_e32 v18, 0x3cf, v39
	global_store_dwordx2 v[0:1], v[52:53], off
	v_lshlrev_b64 v[0:1], 3, v[42:43]
	v_mad_u64_u32 v[32:33], s[4:5], s2, v18, 0
	v_add_co_u32_e32 v0, vcc, v29, v0
	v_fmac_f32_e32 v35, 0x3e9e377a, v78
	v_addc_co_u32_e32 v1, vcc, v36, v1, vcc
	v_mov_b32_e32 v8, v25
	global_store_dwordx2 v[0:1], v[34:35], off
	v_lshlrev_b64 v[0:1], 3, v[7:8]
	v_mov_b32_e32 v2, v33
	v_mad_u64_u32 v[7:8], s[4:5], s3, v18, v[2:3]
	v_add_co_u32_e32 v0, vcc, v29, v0
	v_addc_co_u32_e32 v1, vcc, v36, v1, vcc
	v_mov_b32_e32 v18, v51
	global_store_dwordx2 v[0:1], v[17:18], off
	v_add_u32_e32 v17, 0x514, v39
	v_mov_b32_e32 v33, v7
	v_mad_u64_u32 v[7:8], s[4:5], s2, v17, 0
	v_lshlrev_b64 v[0:1], 3, v[32:33]
	v_fmac_f32_e32 v31, 0x3e9e377a, v78
	v_mov_b32_e32 v2, v8
	v_mad_u64_u32 v[17:18], s[4:5], s3, v17, v[2:3]
	v_add_u32_e32 v2, 0x82, v59
	v_mul_hi_u32 v18, v2, s0
	v_add_co_u32_e32 v0, vcc, v29, v0
	v_addc_co_u32_e32 v1, vcc, v36, v1, vcc
	v_mov_b32_e32 v8, v17
	global_store_dwordx2 v[0:1], v[57:58], off
	v_lshlrev_b64 v[0:1], 3, v[7:8]
	v_lshrrev_b32_e32 v7, 8, v18
	v_mul_u32_u24_e32 v8, 0x145, v7
	v_sub_u32_e32 v2, v2, v8
	v_mad_u32_u24 v32, v7, s1, v2
	v_mad_u64_u32 v[7:8], s[4:5], s2, v32, 0
	v_add_co_u32_e32 v0, vcc, v29, v0
	v_mov_b32_e32 v2, v8
	v_mad_u64_u32 v[17:18], s[4:5], s3, v32, v[2:3]
	v_add_u32_e32 v18, 0x145, v32
	v_mad_u64_u32 v[25:26], s[4:5], s2, v18, 0
	v_addc_co_u32_e32 v1, vcc, v36, v1, vcc
	v_mov_b32_e32 v8, v17
	v_mov_b32_e32 v2, v26
	global_store_dwordx2 v[0:1], v[30:31], off
	v_lshlrev_b64 v[0:1], 3, v[7:8]
	v_mad_u64_u32 v[7:8], s[4:5], s3, v18, v[2:3]
	v_add_u32_e32 v17, 0x28a, v32
	v_add_co_u32_e32 v0, vcc, v29, v0
	v_mov_b32_e32 v26, v7
	v_mad_u64_u32 v[7:8], s[4:5], s2, v17, 0
	v_addc_co_u32_e32 v1, vcc, v36, v1, vcc
	v_mov_b32_e32 v2, v8
	v_mad_u64_u32 v[17:18], s[4:5], s3, v17, v[2:3]
	v_add_u32_e32 v18, 0x3cf, v32
	global_store_dwordx2 v[0:1], v[49:50], off
	v_lshlrev_b64 v[0:1], 3, v[25:26]
	v_mad_u64_u32 v[25:26], s[4:5], s2, v18, 0
	v_add_co_u32_e32 v0, vcc, v29, v0
	v_addc_co_u32_e32 v1, vcc, v36, v1, vcc
	v_mov_b32_e32 v8, v17
	v_mov_b32_e32 v2, v26
	global_store_dwordx2 v[0:1], v[44:45], off
	v_lshlrev_b64 v[0:1], 3, v[7:8]
	v_mad_u64_u32 v[7:8], s[4:5], s3, v18, v[2:3]
	v_add_u32_e32 v17, 0x514, v32
	v_add_co_u32_e32 v0, vcc, v29, v0
	v_mov_b32_e32 v26, v7
	v_mad_u64_u32 v[7:8], s[4:5], s2, v17, 0
	v_addc_co_u32_e32 v1, vcc, v36, v1, vcc
	v_mov_b32_e32 v2, v8
	v_mad_u64_u32 v[17:18], s[4:5], s3, v17, v[2:3]
	v_add_u32_e32 v2, 0xc3, v59
	global_store_dwordx2 v[0:1], v[47:48], off
	v_lshlrev_b64 v[0:1], 3, v[25:26]
	v_mul_hi_u32 v18, v2, s0
	v_add_co_u32_e32 v0, vcc, v29, v0
	v_addc_co_u32_e32 v1, vcc, v36, v1, vcc
	v_mov_b32_e32 v8, v17
	global_store_dwordx2 v[0:1], v[40:41], off
	v_lshlrev_b64 v[0:1], 3, v[7:8]
	v_lshrrev_b32_e32 v7, 8, v18
	v_mul_u32_u24_e32 v8, 0x145, v7
	v_sub_u32_e32 v2, v2, v8
	v_mad_u32_u24 v30, v7, s1, v2
	v_mad_u64_u32 v[7:8], s[4:5], s2, v30, 0
	v_add_co_u32_e32 v0, vcc, v29, v0
	v_mov_b32_e32 v2, v8
	v_mad_u64_u32 v[17:18], s[4:5], s3, v30, v[2:3]
	v_add_u32_e32 v18, 0x145, v30
	v_mad_u64_u32 v[25:26], s[4:5], s2, v18, 0
	v_addc_co_u32_e32 v1, vcc, v36, v1, vcc
	v_mov_b32_e32 v2, v26
	global_store_dwordx2 v[0:1], v[5:6], off
	v_mad_u64_u32 v[5:6], s[4:5], s3, v18, v[2:3]
	v_mov_b32_e32 v8, v17
	v_lshlrev_b64 v[0:1], 3, v[7:8]
	v_add_u32_e32 v7, 0x28a, v30
	v_mov_b32_e32 v26, v5
	v_mad_u64_u32 v[5:6], s[4:5], s2, v7, 0
	v_add_co_u32_e32 v0, vcc, v29, v0
	v_mov_b32_e32 v2, v6
	v_mad_u64_u32 v[6:7], s[4:5], s3, v7, v[2:3]
	v_add_u32_e32 v17, 0x3cf, v30
	v_addc_co_u32_e32 v1, vcc, v36, v1, vcc
	v_mad_u64_u32 v[7:8], s[4:5], s2, v17, 0
	global_store_dwordx2 v[0:1], v[37:38], off
	v_lshlrev_b64 v[0:1], 3, v[25:26]
	v_mov_b32_e32 v2, v8
	v_add_co_u32_e32 v0, vcc, v29, v0
	v_addc_co_u32_e32 v1, vcc, v36, v1, vcc
	global_store_dwordx2 v[0:1], v[23:24], off
	v_lshlrev_b64 v[0:1], 3, v[5:6]
	v_mad_u64_u32 v[5:6], s[4:5], s3, v17, v[2:3]
	v_add_co_u32_e32 v0, vcc, v29, v0
	v_addc_co_u32_e32 v1, vcc, v36, v1, vcc
	v_mov_b32_e32 v8, v5
	global_store_dwordx2 v[0:1], v[27:28], off
	v_lshlrev_b64 v[0:1], 3, v[7:8]
	v_add_u32_e32 v7, 0x514, v30
	v_mad_u64_u32 v[5:6], s[4:5], s2, v7, 0
	v_add_u32_e32 v8, 0x104, v59
	v_mul_hi_u32 v17, v8, s0
	v_mov_b32_e32 v2, v6
	v_mad_u64_u32 v[6:7], s[4:5], s3, v7, v[2:3]
	v_lshrrev_b32_e32 v2, 8, v17
	v_mul_u32_u24_e32 v7, 0x145, v2
	v_sub_u32_e32 v7, v8, v7
	v_mad_u32_u24 v17, v2, s1, v7
	v_mad_u64_u32 v[7:8], s[0:1], s2, v17, 0
	v_add_co_u32_e32 v0, vcc, v29, v0
	v_addc_co_u32_e32 v1, vcc, v36, v1, vcc
	v_mov_b32_e32 v2, v8
	global_store_dwordx2 v[0:1], v[21:22], off
	v_lshlrev_b64 v[0:1], 3, v[5:6]
	v_mad_u64_u32 v[5:6], s[0:1], s3, v17, v[2:3]
	v_add_co_u32_e32 v0, vcc, v29, v0
	v_addc_co_u32_e32 v1, vcc, v36, v1, vcc
	v_mov_b32_e32 v8, v5
	global_store_dwordx2 v[0:1], v[19:20], off
	v_lshlrev_b64 v[0:1], 3, v[7:8]
	v_add_u32_e32 v7, 0x145, v17
	v_mad_u64_u32 v[5:6], s[0:1], s2, v7, 0
	v_add_u32_e32 v18, 0x28a, v17
	v_add_co_u32_e32 v0, vcc, v29, v0
	v_mov_b32_e32 v2, v6
	v_mad_u64_u32 v[6:7], s[0:1], s3, v7, v[2:3]
	v_mad_u64_u32 v[7:8], s[0:1], s2, v18, 0
	v_addc_co_u32_e32 v1, vcc, v36, v1, vcc
	v_mov_b32_e32 v2, v8
	global_store_dwordx2 v[0:1], v[15:16], off
	v_lshlrev_b64 v[0:1], 3, v[5:6]
	v_mad_u64_u32 v[5:6], s[0:1], s3, v18, v[2:3]
	v_add_co_u32_e32 v0, vcc, v29, v0
	v_addc_co_u32_e32 v1, vcc, v36, v1, vcc
	v_mov_b32_e32 v8, v5
	global_store_dwordx2 v[0:1], v[13:14], off
	v_lshlrev_b64 v[0:1], 3, v[7:8]
	v_add_u32_e32 v7, 0x3cf, v17
	v_mad_u64_u32 v[5:6], s[0:1], s2, v7, 0
	v_add_u32_e32 v13, 0x514, v17
	v_add_co_u32_e32 v0, vcc, v29, v0
	v_mov_b32_e32 v2, v6
	v_mad_u64_u32 v[6:7], s[0:1], s3, v7, v[2:3]
	v_mad_u64_u32 v[7:8], s[0:1], s2, v13, 0
	v_addc_co_u32_e32 v1, vcc, v36, v1, vcc
	v_mov_b32_e32 v2, v8
	global_store_dwordx2 v[0:1], v[11:12], off
	v_lshlrev_b64 v[0:1], 3, v[5:6]
	v_mad_u64_u32 v[5:6], s[0:1], s3, v13, v[2:3]
	v_add_co_u32_e32 v0, vcc, v29, v0
	v_addc_co_u32_e32 v1, vcc, v36, v1, vcc
	v_mov_b32_e32 v8, v5
	global_store_dwordx2 v[0:1], v[9:10], off
	v_lshlrev_b64 v[0:1], 3, v[7:8]
	v_add_co_u32_e32 v0, vcc, v29, v0
	v_addc_co_u32_e32 v1, vcc, v36, v1, vcc
	global_store_dwordx2 v[0:1], v[3:4], off
.LBB0_21:
	s_endpgm
	.section	.rodata,"a",@progbits
	.p2align	6, 0x0
	.amdhsa_kernel fft_rtc_back_len1625_factors_13_5_5_5_wgs_130_tpt_65_halfLds_sp_op_CI_CI_sbrr_dirReg
		.amdhsa_group_segment_fixed_size 0
		.amdhsa_private_segment_fixed_size 0
		.amdhsa_kernarg_size 104
		.amdhsa_user_sgpr_count 6
		.amdhsa_user_sgpr_private_segment_buffer 1
		.amdhsa_user_sgpr_dispatch_ptr 0
		.amdhsa_user_sgpr_queue_ptr 0
		.amdhsa_user_sgpr_kernarg_segment_ptr 1
		.amdhsa_user_sgpr_dispatch_id 0
		.amdhsa_user_sgpr_flat_scratch_init 0
		.amdhsa_user_sgpr_private_segment_size 0
		.amdhsa_uses_dynamic_stack 0
		.amdhsa_system_sgpr_private_segment_wavefront_offset 0
		.amdhsa_system_sgpr_workgroup_id_x 1
		.amdhsa_system_sgpr_workgroup_id_y 0
		.amdhsa_system_sgpr_workgroup_id_z 0
		.amdhsa_system_sgpr_workgroup_info 0
		.amdhsa_system_vgpr_workitem_id 0
		.amdhsa_next_free_vgpr 125
		.amdhsa_next_free_sgpr 32
		.amdhsa_reserve_vcc 1
		.amdhsa_reserve_flat_scratch 0
		.amdhsa_float_round_mode_32 0
		.amdhsa_float_round_mode_16_64 0
		.amdhsa_float_denorm_mode_32 3
		.amdhsa_float_denorm_mode_16_64 3
		.amdhsa_dx10_clamp 1
		.amdhsa_ieee_mode 1
		.amdhsa_fp16_overflow 0
		.amdhsa_exception_fp_ieee_invalid_op 0
		.amdhsa_exception_fp_denorm_src 0
		.amdhsa_exception_fp_ieee_div_zero 0
		.amdhsa_exception_fp_ieee_overflow 0
		.amdhsa_exception_fp_ieee_underflow 0
		.amdhsa_exception_fp_ieee_inexact 0
		.amdhsa_exception_int_div_zero 0
	.end_amdhsa_kernel
	.text
.Lfunc_end0:
	.size	fft_rtc_back_len1625_factors_13_5_5_5_wgs_130_tpt_65_halfLds_sp_op_CI_CI_sbrr_dirReg, .Lfunc_end0-fft_rtc_back_len1625_factors_13_5_5_5_wgs_130_tpt_65_halfLds_sp_op_CI_CI_sbrr_dirReg
                                        ; -- End function
	.section	.AMDGPU.csdata,"",@progbits
; Kernel info:
; codeLenInByte = 19092
; NumSgprs: 36
; NumVgprs: 125
; ScratchSize: 0
; MemoryBound: 0
; FloatMode: 240
; IeeeMode: 1
; LDSByteSize: 0 bytes/workgroup (compile time only)
; SGPRBlocks: 4
; VGPRBlocks: 31
; NumSGPRsForWavesPerEU: 36
; NumVGPRsForWavesPerEU: 125
; Occupancy: 2
; WaveLimiterHint : 1
; COMPUTE_PGM_RSRC2:SCRATCH_EN: 0
; COMPUTE_PGM_RSRC2:USER_SGPR: 6
; COMPUTE_PGM_RSRC2:TRAP_HANDLER: 0
; COMPUTE_PGM_RSRC2:TGID_X_EN: 1
; COMPUTE_PGM_RSRC2:TGID_Y_EN: 0
; COMPUTE_PGM_RSRC2:TGID_Z_EN: 0
; COMPUTE_PGM_RSRC2:TIDIG_COMP_CNT: 0
	.type	__hip_cuid_c519667f74c3871,@object ; @__hip_cuid_c519667f74c3871
	.section	.bss,"aw",@nobits
	.globl	__hip_cuid_c519667f74c3871
__hip_cuid_c519667f74c3871:
	.byte	0                               ; 0x0
	.size	__hip_cuid_c519667f74c3871, 1

	.ident	"AMD clang version 19.0.0git (https://github.com/RadeonOpenCompute/llvm-project roc-6.4.0 25133 c7fe45cf4b819c5991fe208aaa96edf142730f1d)"
	.section	".note.GNU-stack","",@progbits
	.addrsig
	.addrsig_sym __hip_cuid_c519667f74c3871
	.amdgpu_metadata
---
amdhsa.kernels:
  - .args:
      - .actual_access:  read_only
        .address_space:  global
        .offset:         0
        .size:           8
        .value_kind:     global_buffer
      - .offset:         8
        .size:           8
        .value_kind:     by_value
      - .actual_access:  read_only
        .address_space:  global
        .offset:         16
        .size:           8
        .value_kind:     global_buffer
      - .actual_access:  read_only
        .address_space:  global
        .offset:         24
        .size:           8
        .value_kind:     global_buffer
      - .actual_access:  read_only
        .address_space:  global
        .offset:         32
        .size:           8
        .value_kind:     global_buffer
      - .offset:         40
        .size:           8
        .value_kind:     by_value
      - .actual_access:  read_only
        .address_space:  global
        .offset:         48
        .size:           8
        .value_kind:     global_buffer
      - .actual_access:  read_only
        .address_space:  global
        .offset:         56
        .size:           8
        .value_kind:     global_buffer
      - .offset:         64
        .size:           4
        .value_kind:     by_value
      - .actual_access:  read_only
        .address_space:  global
        .offset:         72
        .size:           8
        .value_kind:     global_buffer
      - .actual_access:  read_only
        .address_space:  global
        .offset:         80
        .size:           8
        .value_kind:     global_buffer
      - .actual_access:  read_only
        .address_space:  global
        .offset:         88
        .size:           8
        .value_kind:     global_buffer
      - .actual_access:  write_only
        .address_space:  global
        .offset:         96
        .size:           8
        .value_kind:     global_buffer
    .group_segment_fixed_size: 0
    .kernarg_segment_align: 8
    .kernarg_segment_size: 104
    .language:       OpenCL C
    .language_version:
      - 2
      - 0
    .max_flat_workgroup_size: 130
    .name:           fft_rtc_back_len1625_factors_13_5_5_5_wgs_130_tpt_65_halfLds_sp_op_CI_CI_sbrr_dirReg
    .private_segment_fixed_size: 0
    .sgpr_count:     36
    .sgpr_spill_count: 0
    .symbol:         fft_rtc_back_len1625_factors_13_5_5_5_wgs_130_tpt_65_halfLds_sp_op_CI_CI_sbrr_dirReg.kd
    .uniform_work_group_size: 1
    .uses_dynamic_stack: false
    .vgpr_count:     125
    .vgpr_spill_count: 0
    .wavefront_size: 64
amdhsa.target:   amdgcn-amd-amdhsa--gfx906
amdhsa.version:
  - 1
  - 2
...

	.end_amdgpu_metadata
